;; amdgpu-corpus repo=ROCm/rocFFT kind=compiled arch=gfx1030 opt=O3
	.text
	.amdgcn_target "amdgcn-amd-amdhsa--gfx1030"
	.amdhsa_code_object_version 6
	.protected	bluestein_single_back_len1320_dim1_dp_op_CI_CI ; -- Begin function bluestein_single_back_len1320_dim1_dp_op_CI_CI
	.globl	bluestein_single_back_len1320_dim1_dp_op_CI_CI
	.p2align	8
	.type	bluestein_single_back_len1320_dim1_dp_op_CI_CI,@function
bluestein_single_back_len1320_dim1_dp_op_CI_CI: ; @bluestein_single_back_len1320_dim1_dp_op_CI_CI
; %bb.0:
	s_load_dwordx4 s[0:3], s[4:5], 0x28
	v_mul_u32_u24_e32 v1, 0x18e, v0
	v_mov_b32_e32 v149, 0
	v_lshrrev_b32_e32 v1, 16, v1
	v_add_nc_u32_e32 v148, s6, v1
	s_waitcnt lgkmcnt(0)
	v_cmp_gt_u64_e32 vcc_lo, s[0:1], v[148:149]
	s_and_saveexec_b32 s0, vcc_lo
	s_cbranch_execz .LBB0_31
; %bb.1:
	s_clause 0x1
	s_load_dwordx2 s[14:15], s[4:5], 0x0
	s_load_dwordx2 s[12:13], s[4:5], 0x38
	v_mul_lo_u16 v1, 0xa5, v1
	v_sub_nc_u16 v0, v0, v1
	v_and_b32_e32 v230, 0xffff, v0
	v_cmp_gt_u16_e32 vcc_lo, 0x78, v0
	v_lshlrev_b32_e32 v229, 4, v230
	s_and_saveexec_b32 s1, vcc_lo
	s_cbranch_execz .LBB0_3
; %bb.2:
	s_load_dwordx2 s[6:7], s[4:5], 0x18
	s_waitcnt lgkmcnt(0)
	s_clause 0x1
	global_load_dwordx4 v[0:3], v229, s[14:15]
	global_load_dwordx4 v[4:7], v229, s[14:15] offset:1920
	v_add_co_u32 v18, s0, s14, v229
	v_add_co_ci_u32_e64 v19, null, s15, 0, s0
	v_add_co_u32 v8, s0, 0x800, v18
	v_add_co_ci_u32_e64 v9, s0, 0, v19, s0
	v_add_co_u32 v12, s0, 0x1000, v18
	v_add_co_ci_u32_e64 v13, s0, 0, v19, s0
	;; [unrolled: 2-line block ×3, first 2 shown]
	v_add_co_u32 v20, s0, 0x2000, v18
	s_load_dwordx4 s[8:11], s[6:7], 0x0
	v_add_co_ci_u32_e64 v21, s0, 0, v19, s0
	v_add_co_u32 v24, s0, 0x2800, v18
	v_add_co_ci_u32_e64 v25, s0, 0, v19, s0
	v_add_co_u32 v30, s0, 0x3000, v18
	;; [unrolled: 2-line block ×5, first 2 shown]
	s_waitcnt lgkmcnt(0)
	v_mad_u64_u32 v[26:27], null, s10, v148, 0
	v_mad_u64_u32 v[28:29], null, s8, v230, 0
	v_add_co_ci_u32_e64 v81, s0, 0, v19, s0
	s_mul_i32 s6, s9, 0x780
	s_mul_hi_u32 s7, s8, 0x780
	v_mov_b32_e32 v10, v27
	s_add_i32 s7, s7, s6
	v_mov_b32_e32 v11, v29
	v_mad_u64_u32 v[14:15], null, s11, v148, v[10:11]
	v_mad_u64_u32 v[34:35], null, s9, v230, v[11:12]
	global_load_dwordx4 v[8:11], v[8:9], off offset:1792
	v_mov_b32_e32 v27, v14
	s_clause 0x2
	global_load_dwordx4 v[12:15], v[12:13], off offset:1664
	global_load_dwordx4 v[16:19], v[16:17], off offset:1536
	;; [unrolled: 1-line block ×3, first 2 shown]
	v_mov_b32_e32 v29, v34
	v_lshlrev_b64 v[34:35], 4, v[26:27]
	global_load_dwordx4 v[24:27], v[24:25], off offset:1280
	v_lshlrev_b64 v[28:29], 4, v[28:29]
	v_add_co_u32 v34, s0, s2, v34
	v_add_co_ci_u32_e64 v35, s0, s3, v35, s0
	s_mul_i32 s2, s8, 0x780
	v_add_co_u32 v36, s0, v34, v28
	v_add_co_ci_u32_e64 v37, s0, v35, v29, s0
	global_load_dwordx4 v[28:31], v[30:31], off offset:1152
	v_add_co_u32 v40, s0, v36, s2
	v_add_co_ci_u32_e64 v41, s0, s7, v37, s0
	global_load_dwordx4 v[32:35], v[32:33], off offset:1024
	v_add_co_u32 v44, s0, v40, s2
	v_add_co_ci_u32_e64 v45, s0, s7, v41, s0
	s_clause 0x1
	global_load_dwordx4 v[36:39], v[36:37], off
	global_load_dwordx4 v[40:43], v[40:41], off
	v_add_co_u32 v48, s0, v44, s2
	v_add_co_ci_u32_e64 v49, s0, s7, v45, s0
	global_load_dwordx4 v[44:47], v[44:45], off
	v_add_co_u32 v52, s0, v48, s2
	v_add_co_ci_u32_e64 v53, s0, s7, v49, s0
	;; [unrolled: 3-line block ×7, first 2 shown]
	v_add_co_u32 v84, s0, v76, s2
	v_add_co_ci_u32_e64 v85, s0, s7, v77, s0
	global_load_dwordx4 v[68:71], v[68:69], off
	global_load_dwordx4 v[72:75], v[72:73], off offset:896
	global_load_dwordx4 v[76:79], v[76:77], off
	global_load_dwordx4 v[80:83], v[80:81], off offset:768
	global_load_dwordx4 v[84:87], v[84:85], off
	s_waitcnt vmcnt(12)
	v_mul_f64 v[88:89], v[38:39], v[2:3]
	v_mul_f64 v[2:3], v[36:37], v[2:3]
	s_waitcnt vmcnt(11)
	v_mul_f64 v[90:91], v[42:43], v[6:7]
	v_mul_f64 v[6:7], v[40:41], v[6:7]
	s_waitcnt vmcnt(10)
	v_mul_f64 v[92:93], v[46:47], v[10:11]
	v_mul_f64 v[10:11], v[44:45], v[10:11]
	s_waitcnt vmcnt(9)
	v_mul_f64 v[94:95], v[50:51], v[14:15]
	v_mul_f64 v[14:15], v[48:49], v[14:15]
	s_waitcnt vmcnt(8)
	v_mul_f64 v[96:97], v[54:55], v[18:19]
	v_mul_f64 v[18:19], v[52:53], v[18:19]
	s_waitcnt vmcnt(7)
	v_mul_f64 v[98:99], v[58:59], v[22:23]
	v_mul_f64 v[22:23], v[56:57], v[22:23]
	s_waitcnt vmcnt(6)
	v_mul_f64 v[100:101], v[62:63], v[26:27]
	v_mul_f64 v[26:27], v[60:61], v[26:27]
	s_waitcnt vmcnt(5)
	v_mul_f64 v[102:103], v[66:67], v[30:31]
	v_mul_f64 v[30:31], v[64:65], v[30:31]
	s_waitcnt vmcnt(4)
	v_mul_f64 v[104:105], v[70:71], v[34:35]
	v_mul_f64 v[106:107], v[68:69], v[34:35]
	s_waitcnt vmcnt(2)
	v_mul_f64 v[108:109], v[78:79], v[74:75]
	v_mul_f64 v[74:75], v[76:77], v[74:75]
	s_waitcnt vmcnt(0)
	v_mul_f64 v[110:111], v[86:87], v[82:83]
	v_mul_f64 v[82:83], v[84:85], v[82:83]
	v_fma_f64 v[34:35], v[36:37], v[0:1], v[88:89]
	v_fma_f64 v[36:37], v[38:39], v[0:1], -v[2:3]
	v_fma_f64 v[0:1], v[40:41], v[4:5], v[90:91]
	v_fma_f64 v[2:3], v[42:43], v[4:5], -v[6:7]
	;; [unrolled: 2-line block ×11, first 2 shown]
	ds_write_b128 v229, v[34:37]
	ds_write_b128 v229, v[0:3] offset:1920
	ds_write_b128 v229, v[4:7] offset:3840
	;; [unrolled: 1-line block ×10, first 2 shown]
.LBB0_3:
	s_or_b32 exec_lo, exec_lo, s1
	s_clause 0x1
	s_load_dwordx2 s[0:1], s[4:5], 0x20
	s_load_dwordx2 s[2:3], s[4:5], 0x8
	s_waitcnt lgkmcnt(0)
	s_barrier
	buffer_gl0_inv
                                        ; implicit-def: $vgpr4_vgpr5
                                        ; implicit-def: $vgpr40_vgpr41
                                        ; implicit-def: $vgpr32_vgpr33
                                        ; implicit-def: $vgpr24_vgpr25
                                        ; implicit-def: $vgpr16_vgpr17
                                        ; implicit-def: $vgpr12_vgpr13
                                        ; implicit-def: $vgpr8_vgpr9
                                        ; implicit-def: $vgpr28_vgpr29
                                        ; implicit-def: $vgpr36_vgpr37
                                        ; implicit-def: $vgpr44_vgpr45
                                        ; implicit-def: $vgpr48_vgpr49
	s_and_saveexec_b32 s4, vcc_lo
	s_cbranch_execz .LBB0_5
; %bb.4:
	ds_read_b128 v[4:7], v229
	ds_read_b128 v[48:51], v229 offset:1920
	ds_read_b128 v[44:47], v229 offset:3840
	;; [unrolled: 1-line block ×10, first 2 shown]
.LBB0_5:
	s_or_b32 exec_lo, exec_lo, s4
	s_waitcnt lgkmcnt(0)
	v_add_f64 v[66:67], v[50:51], -v[10:11]
	v_add_f64 v[56:57], v[48:49], -v[8:9]
	s_mov_b32 s4, 0xf8bb580b
	s_mov_b32 s6, 0x8eee2c13
	;; [unrolled: 1-line block ×6, first 2 shown]
	v_add_f64 v[52:53], v[8:9], v[48:49]
	v_add_f64 v[72:73], v[10:11], v[50:51]
	v_add_f64 v[62:63], v[46:47], -v[14:15]
	v_add_f64 v[58:59], v[44:45], -v[12:13]
	s_mov_b32 s8, 0x8764f0ba
	s_mov_b32 s10, 0xd9c712b6
	;; [unrolled: 1-line block ×10, first 2 shown]
	v_mul_f64 v[68:69], v[66:67], s[4:5]
	v_mul_f64 v[74:75], v[56:57], s[4:5]
	;; [unrolled: 1-line block ×6, first 2 shown]
	v_add_f64 v[54:55], v[12:13], v[44:45]
	v_add_f64 v[70:71], v[14:15], v[46:47]
	v_add_f64 v[64:65], v[42:43], -v[18:19]
	v_add_f64 v[60:61], v[40:41], -v[16:17]
	v_mul_f64 v[102:103], v[62:63], s[6:7]
	v_mul_f64 v[110:111], v[58:59], s[6:7]
	;; [unrolled: 1-line block ×6, first 2 shown]
	s_mov_b32 s28, 0x7f775887
	s_mov_b32 s24, 0x9bcd5057
	;; [unrolled: 1-line block ×6, first 2 shown]
	v_fma_f64 v[0:1], v[52:53], s[8:9], v[68:69]
	v_fma_f64 v[2:3], v[72:73], s[8:9], -v[74:75]
	v_fma_f64 v[20:21], v[52:53], s[10:11], v[96:97]
	v_fma_f64 v[22:23], v[72:73], s[10:11], -v[100:101]
	;; [unrolled: 2-line block ×3, first 2 shown]
	v_add_f64 v[82:83], v[40:41], v[16:17]
	v_add_f64 v[92:93], v[42:43], v[18:19]
	v_add_f64 v[84:85], v[34:35], -v[26:27]
	v_add_f64 v[80:81], v[32:33], -v[24:25]
	v_mul_f64 v[98:99], v[64:65], s[16:17]
	v_mul_f64 v[104:105], v[60:61], s[16:17]
	v_mul_f64 v[108:109], v[64:65], s[26:27]
	v_mul_f64 v[114:115], v[60:61], s[26:27]
	v_fma_f64 v[90:91], v[54:55], s[10:11], v[102:103]
	v_fma_f64 v[116:117], v[70:71], s[10:11], -v[110:111]
	v_fma_f64 v[122:123], v[54:55], s[28:29], v[118:119]
	v_fma_f64 v[126:127], v[70:71], s[28:29], -v[124:125]
	v_mul_f64 v[130:131], v[64:65], s[18:19]
	v_fma_f64 v[134:135], v[54:55], s[24:25], v[120:121]
	v_mul_f64 v[142:143], v[60:61], s[18:19]
	v_fma_f64 v[140:141], v[70:71], s[24:25], -v[138:139]
	v_add_f64 v[0:1], v[4:5], v[0:1]
	v_add_f64 v[2:3], v[6:7], v[2:3]
	;; [unrolled: 1-line block ×6, first 2 shown]
	s_mov_b32 s31, 0x3fefac9e
	s_mov_b32 s30, s16
	v_add_f64 v[86:87], v[32:33], v[24:25]
	v_add_f64 v[149:150], v[34:35], v[26:27]
	v_add_f64 v[88:89], v[38:39], -v[30:31]
	v_add_f64 v[94:95], v[36:37], -v[28:29]
	v_mul_f64 v[106:107], v[84:85], s[34:35]
	v_mul_f64 v[112:113], v[80:81], s[34:35]
	v_fma_f64 v[146:147], v[82:83], s[22:23], v[98:99]
	v_fma_f64 v[157:158], v[92:93], s[22:23], -v[104:105]
	v_fma_f64 v[159:160], v[82:83], s[24:25], v[108:109]
	v_fma_f64 v[161:162], v[92:93], s[24:25], -v[114:115]
	v_mul_f64 v[128:129], v[84:85], s[30:31]
	v_mul_f64 v[132:133], v[80:81], s[30:31]
	;; [unrolled: 1-line block ×3, first 2 shown]
	v_fma_f64 v[163:164], v[82:83], s[10:11], v[130:131]
	v_add_f64 v[0:1], v[90:91], v[0:1]
	v_add_f64 v[2:3], v[116:117], v[2:3]
	;; [unrolled: 1-line block ×5, first 2 shown]
	v_mul_f64 v[144:145], v[80:81], s[4:5]
	v_fma_f64 v[165:166], v[92:93], s[10:11], -v[142:143]
	v_add_f64 v[78:79], v[140:141], v[78:79]
	s_mov_b32 s21, 0xbfd207e7
	s_mov_b32 s37, 0x3fe14ced
	;; [unrolled: 1-line block ×4, first 2 shown]
	v_add_f64 v[90:91], v[28:29], v[36:37]
	v_add_f64 v[155:156], v[30:31], v[38:39]
	v_mul_f64 v[116:117], v[88:89], s[20:21]
	v_mul_f64 v[122:123], v[94:95], s[20:21]
	;; [unrolled: 1-line block ×3, first 2 shown]
	v_fma_f64 v[167:168], v[86:87], s[28:29], v[106:107]
	v_fma_f64 v[169:170], v[149:150], s[28:29], -v[112:113]
	v_mul_f64 v[134:135], v[94:95], s[36:37]
	v_mul_f64 v[140:141], v[88:89], s[34:35]
	v_mul_lo_u16 v232, v230, 11
	v_add_f64 v[0:1], v[146:147], v[0:1]
	v_add_f64 v[2:3], v[157:158], v[2:3]
	;; [unrolled: 1-line block ×4, first 2 shown]
	v_mul_f64 v[146:147], v[94:95], s[34:35]
	v_fma_f64 v[157:158], v[86:87], s[22:23], v[128:129]
	v_fma_f64 v[159:160], v[149:150], s[22:23], -v[132:133]
	v_add_f64 v[76:77], v[163:164], v[76:77]
	v_fma_f64 v[161:162], v[86:87], s[8:9], v[136:137]
	v_fma_f64 v[163:164], v[149:150], s[8:9], -v[144:145]
	v_add_f64 v[78:79], v[165:166], v[78:79]
	s_barrier
	buffer_gl0_inv
	v_fma_f64 v[165:166], v[90:91], s[24:25], v[116:117]
	v_fma_f64 v[171:172], v[155:156], s[24:25], -v[122:123]
	v_fma_f64 v[173:174], v[90:91], s[8:9], v[126:127]
	v_fma_f64 v[175:176], v[155:156], s[8:9], -v[134:135]
	v_fma_f64 v[177:178], v[90:91], s[28:29], v[140:141]
	v_add_f64 v[0:1], v[167:168], v[0:1]
	v_add_f64 v[2:3], v[169:170], v[2:3]
	v_fma_f64 v[179:180], v[155:156], s[28:29], -v[146:147]
	v_add_f64 v[20:21], v[157:158], v[20:21]
	v_add_f64 v[22:23], v[159:160], v[22:23]
	v_add_f64 v[157:158], v[161:162], v[76:77]
	v_add_f64 v[159:160], v[163:164], v[78:79]
	v_add_f64 v[0:1], v[165:166], v[0:1]
	v_add_f64 v[2:3], v[171:172], v[2:3]
	v_add_f64 v[76:77], v[173:174], v[20:21]
	v_add_f64 v[78:79], v[175:176], v[22:23]
	v_add_f64 v[20:21], v[177:178], v[157:158]
	v_add_f64 v[22:23], v[179:180], v[159:160]
	s_and_saveexec_b32 s33, vcc_lo
	s_cbranch_execz .LBB0_7
; %bb.6:
	v_add_f64 v[50:51], v[6:7], v[50:51]
	v_mul_f64 v[159:160], v[66:67], s[20:21]
	v_add_f64 v[48:49], v[4:5], v[48:49]
	v_mul_f64 v[157:158], v[72:73], s[24:25]
	v_mul_f64 v[163:164], v[62:63], s[36:37]
	;; [unrolled: 1-line block ×14, first 2 shown]
	s_mov_b32 s39, 0x3fe82f19
	s_mov_b32 s38, s34
	v_mul_f64 v[193:194], v[149:150], s[10:11]
	v_mul_f64 v[181:182], v[54:55], s[10:11]
	;; [unrolled: 1-line block ×3, first 2 shown]
	v_add_f64 v[46:47], v[46:47], v[50:51]
	v_fma_f64 v[50:51], v[52:53], s[24:25], v[159:160]
	v_fma_f64 v[159:160], v[52:53], s[24:25], -v[159:160]
	v_add_f64 v[44:45], v[44:45], v[48:49]
	v_fma_f64 v[48:49], v[56:57], s[26:27], v[157:158]
	v_fma_f64 v[157:158], v[56:57], s[20:21], v[157:158]
	;; [unrolled: 1-line block ×3, first 2 shown]
	v_fma_f64 v[163:164], v[54:55], s[8:9], -v[163:164]
	v_fma_f64 v[203:204], v[58:59], s[4:5], v[161:162]
	v_fma_f64 v[161:162], v[58:59], s[36:37], v[161:162]
	;; [unrolled: 1-line block ×3, first 2 shown]
	v_fma_f64 v[179:180], v[82:83], s[28:29], -v[179:180]
	v_fma_f64 v[225:226], v[60:61], s[38:39], v[175:176]
	v_fma_f64 v[175:176], v[60:61], s[34:35], v[175:176]
	v_mul_f64 v[187:188], v[70:71], s[28:29]
	v_mul_f64 v[191:192], v[70:71], s[24:25]
	;; [unrolled: 1-line block ×3, first 2 shown]
	v_add_f64 v[100:101], v[100:101], v[171:172]
	v_add_f64 v[96:97], v[169:170], -v[96:97]
	v_add_f64 v[74:75], v[74:75], v[167:168]
	v_add_f64 v[68:69], v[165:166], -v[68:69]
	v_fma_f64 v[165:166], v[86:87], s[10:11], -v[195:196]
	v_add_f64 v[42:43], v[42:43], v[46:47]
	v_add_f64 v[46:47], v[4:5], v[50:51]
	v_add_f64 v[50:51], v[4:5], v[159:160]
	v_add_f64 v[40:41], v[40:41], v[44:45]
	v_add_f64 v[44:45], v[6:7], v[48:49]
	v_add_f64 v[48:49], v[6:7], v[157:158]
	v_mul_f64 v[185:186], v[54:55], s[28:29]
	v_mul_f64 v[189:190], v[54:55], s[24:25]
	v_mul_f64 v[197:198], v[82:83], s[22:23]
	v_mul_f64 v[199:200], v[92:93], s[22:23]
	v_mul_f64 v[157:158], v[92:93], s[24:25]
	v_mul_f64 v[207:208], v[92:93], s[10:11]
	v_mul_f64 v[92:93], v[92:93], s[8:9]
	v_add_f64 v[110:111], v[110:111], v[183:184]
	v_add_f64 v[102:103], v[181:182], -v[102:103]
	v_mul_f64 v[201:202], v[82:83], s[24:25]
	v_fma_f64 v[167:168], v[58:59], s[16:17], v[70:71]
	v_fma_f64 v[58:59], v[58:59], s[30:31], v[70:71]
	v_add_f64 v[100:101], v[6:7], v[100:101]
	v_add_f64 v[96:97], v[4:5], v[96:97]
	v_mul_f64 v[159:160], v[82:83], s[10:11]
	v_mul_f64 v[209:210], v[86:87], s[28:29]
	v_add_f64 v[34:35], v[34:35], v[42:43]
	v_add_f64 v[42:43], v[205:206], v[46:47]
	;; [unrolled: 1-line block ×6, first 2 shown]
	v_mul_f64 v[48:49], v[62:63], s[30:31]
	v_fma_f64 v[62:63], v[56:57], s[38:39], v[177:178]
	v_fma_f64 v[56:57], v[56:57], s[34:35], v[177:178]
	;; [unrolled: 1-line block ×3, first 2 shown]
	v_fma_f64 v[52:53], v[52:53], s[28:29], -v[66:67]
	v_add_f64 v[66:67], v[153:154], v[72:73]
	v_add_f64 v[72:73], v[173:174], -v[151:152]
	v_fma_f64 v[153:154], v[86:87], s[10:11], v[195:196]
	v_fma_f64 v[151:152], v[80:81], s[6:7], v[193:194]
	;; [unrolled: 1-line block ×3, first 2 shown]
	v_add_f64 v[118:119], v[185:186], -v[118:119]
	v_add_f64 v[120:121], v[189:190], -v[120:121]
	v_mul_f64 v[211:212], v[149:150], s[28:29]
	v_mul_f64 v[215:216], v[149:150], s[22:23]
	;; [unrolled: 1-line block ×3, first 2 shown]
	v_add_f64 v[114:115], v[114:115], v[157:158]
	v_add_f64 v[34:35], v[38:39], v[34:35]
	;; [unrolled: 1-line block ×7, first 2 shown]
	v_mul_f64 v[44:45], v[149:150], s[24:25]
	v_add_f64 v[62:63], v[6:7], v[62:63]
	v_add_f64 v[56:57], v[6:7], v[56:57]
	;; [unrolled: 1-line block ×10, first 2 shown]
	v_add_f64 v[98:99], v[197:198], -v[98:99]
	v_mul_f64 v[213:214], v[86:87], s[22:23]
	v_add_f64 v[96:97], v[118:119], v[96:97]
	v_mul_f64 v[217:218], v[86:87], s[8:9]
	v_mul_f64 v[84:85], v[84:85], s[20:21]
	v_add_f64 v[30:31], v[30:31], v[34:35]
	v_add_f64 v[34:35], v[153:154], v[38:39]
	;; [unrolled: 1-line block ×7, first 2 shown]
	v_mul_f64 v[40:41], v[64:65], s[4:5]
	v_fma_f64 v[163:164], v[54:55], s[22:23], -v[48:49]
	v_fma_f64 v[48:49], v[54:55], s[22:23], v[48:49]
	v_add_f64 v[62:63], v[167:168], v[62:63]
	v_fma_f64 v[54:55], v[60:61], s[36:37], v[92:93]
	v_fma_f64 v[60:61], v[60:61], s[4:5], v[92:93]
	v_add_f64 v[56:57], v[58:59], v[56:57]
	v_add_f64 v[92:93], v[142:143], v[207:208]
	;; [unrolled: 1-line block ×5, first 2 shown]
	v_add_f64 v[100:101], v[201:202], -v[108:109]
	v_add_f64 v[72:73], v[120:121], v[72:73]
	v_mul_f64 v[219:220], v[155:156], s[22:23]
	v_mul_f64 v[221:222], v[88:89], s[16:17]
	v_add_f64 v[26:27], v[26:27], v[30:31]
	v_mul_f64 v[50:51], v[90:91], s[24:25]
	v_mul_f64 v[46:47], v[155:156], s[24:25]
	v_add_f64 v[42:43], v[42:43], v[66:67]
	v_add_f64 v[66:67], v[159:160], -v[130:131]
	v_add_f64 v[24:25], v[24:25], v[28:29]
	v_mul_f64 v[64:65], v[155:156], s[8:9]
	v_fma_f64 v[58:59], v[82:83], s[8:9], -v[40:41]
	v_add_f64 v[52:53], v[163:164], v[52:53]
	v_fma_f64 v[40:41], v[82:83], s[8:9], v[40:41]
	v_add_f64 v[28:29], v[48:49], v[70:71]
	v_mul_f64 v[74:75], v[90:91], s[28:29]
	v_fma_f64 v[165:166], v[80:81], s[26:27], v[44:45]
	v_add_f64 v[30:31], v[54:55], v[62:63]
	v_mul_f64 v[48:49], v[88:89], s[18:19]
	v_fma_f64 v[44:45], v[80:81], s[20:21], v[44:45]
	v_add_f64 v[54:55], v[60:61], v[56:57]
	v_add_f64 v[60:61], v[144:145], v[223:224]
	;; [unrolled: 1-line block ×6, first 2 shown]
	v_add_f64 v[88:89], v[209:210], -v[106:107]
	v_add_f64 v[4:5], v[98:99], v[4:5]
	v_mul_f64 v[149:150], v[90:91], s[8:9]
	v_add_f64 v[42:43], v[92:93], v[42:43]
	v_mul_f64 v[124:125], v[155:156], s[28:29]
	v_mul_f64 v[155:156], v[155:156], s[10:11]
	v_add_f64 v[80:81], v[213:214], -v[128:129]
	v_add_f64 v[92:93], v[100:101], v[96:97]
	v_add_f64 v[62:63], v[217:218], -v[136:137]
	v_add_f64 v[66:67], v[66:67], v[72:73]
	v_fma_f64 v[56:57], v[86:87], s[24:25], -v[84:85]
	v_add_f64 v[52:53], v[58:59], v[52:53]
	v_add_f64 v[18:19], v[18:19], v[26:27]
	;; [unrolled: 1-line block ×3, first 2 shown]
	v_fma_f64 v[58:59], v[86:87], s[24:25], v[84:85]
	v_add_f64 v[24:25], v[40:41], v[28:29]
	v_fma_f64 v[138:139], v[94:95], s[30:31], v[219:220]
	v_fma_f64 v[151:152], v[90:91], s[22:23], v[221:222]
	v_add_f64 v[28:29], v[44:45], v[54:55]
	v_add_f64 v[54:55], v[74:75], -v[140:141]
	v_add_f64 v[46:47], v[122:123], v[46:47]
	v_add_f64 v[50:51], v[50:51], -v[116:117]
	v_add_f64 v[72:73], v[165:166], v[30:31]
	v_add_f64 v[74:75], v[88:89], v[4:5]
	v_fma_f64 v[44:45], v[90:91], s[10:11], -v[48:49]
	v_add_f64 v[42:43], v[60:61], v[42:43]
	v_add_f64 v[60:61], v[134:135], v[64:65]
	;; [unrolled: 1-line block ×4, first 2 shown]
	v_fma_f64 v[26:27], v[94:95], s[18:19], v[155:156]
	v_add_f64 v[30:31], v[146:147], v[124:125]
	v_add_f64 v[68:69], v[149:150], -v[126:127]
	v_add_f64 v[80:81], v[80:81], v[92:93]
	v_add_f64 v[62:63], v[62:63], v[66:67]
	;; [unrolled: 1-line block ×3, first 2 shown]
	v_fma_f64 v[153:154], v[94:95], s[16:17], v[219:220]
	v_fma_f64 v[161:162], v[90:91], s[22:23], -v[221:222]
	v_add_f64 v[56:57], v[14:15], v[18:19]
	v_add_f64 v[66:67], v[12:13], v[16:17]
	v_fma_f64 v[40:41], v[94:95], s[6:7], v[155:156]
	v_fma_f64 v[48:49], v[90:91], s[10:11], v[48:49]
	v_add_f64 v[58:59], v[58:59], v[24:25]
	v_add_f64 v[6:7], v[138:139], v[32:33]
	;; [unrolled: 1-line block ×16, first 2 shown]
	v_mov_b32_e32 v40, 4
	v_add_f64 v[36:37], v[48:49], v[58:59]
	v_lshlrev_b32_sdwa v40, v40, v232 dst_sel:DWORD dst_unused:UNUSED_PAD src0_sel:DWORD src1_sel:WORD_0
	ds_write_b128 v40, v[32:35] offset:16
	ds_write_b128 v40, v[28:31] offset:32
	;; [unrolled: 1-line block ×6, first 2 shown]
	ds_write_b128 v40, v[8:11]
	ds_write_b128 v40, v[36:39] offset:112
	ds_write_b128 v40, v[20:23] offset:128
	ds_write_b128 v40, v[76:79] offset:144
	ds_write_b128 v40, v[0:3] offset:160
.LBB0_7:
	s_or_b32 exec_lo, exec_lo, s33
	v_and_b32_e32 v4, 0xff, v230
	v_mov_b32_e32 v6, 0xba2f
	v_add_nc_u16 v84, v230, 0x14a
	v_add_nc_u16 v116, v230, 0xa5
	v_mov_b32_e32 v85, 4
	v_mul_lo_u16 v4, 0x75, v4
	s_load_dwordx4 s[4:7], s[0:1], 0x0
	v_mul_u32_u24_sdwa v36, v84, v6 dst_sel:DWORD dst_unused:UNUSED_PAD src0_sel:WORD_0 src1_sel:DWORD
	v_mul_u32_u24_sdwa v37, v116, v6 dst_sel:DWORD dst_unused:UNUSED_PAD src0_sel:WORD_0 src1_sel:DWORD
	s_waitcnt lgkmcnt(0)
	v_lshrrev_b16 v4, 8, v4
	s_barrier
	v_lshrrev_b32_e32 v67, 19, v36
	v_lshrrev_b32_e32 v68, 19, v37
	buffer_gl0_inv
	v_sub_nc_u16 v5, v230, v4
	v_lshlrev_b32_sdwa v231, v85, v230 dst_sel:DWORD dst_unused:UNUSED_PAD src0_sel:DWORD src1_sel:WORD_0
	v_cmp_gt_u16_e64 s0, 0x6e, v230
	v_mul_lo_u16 v7, v68, 11
	v_lshrrev_b16 v5, 1, v5
	v_sub_nc_u16 v72, v116, v7
	v_and_b32_e32 v5, 0x7f, v5
	v_lshlrev_b32_sdwa v9, v85, v72 dst_sel:DWORD dst_unused:UNUSED_PAD src0_sel:DWORD src1_sel:WORD_0
	v_add_nc_u16 v4, v5, v4
	v_add_co_u32 v5, null, 0x1ef, v230
	v_lshrrev_b16 v66, 3, v4
	v_mul_u32_u24_sdwa v4, v5, v6 dst_sel:DWORD dst_unused:UNUSED_PAD src0_sel:WORD_0 src1_sel:DWORD
	v_mul_lo_u16 v6, v66, 11
	v_lshrrev_b32_e32 v69, 19, v4
	v_mul_lo_u16 v4, v67, 11
	v_sub_nc_u16 v6, v230, v6
	v_mul_lo_u16 v8, v69, 11
	v_sub_nc_u16 v70, v84, v4
	v_and_b32_e32 v71, 0xff, v6
	v_sub_nc_u16 v73, v5, v8
	v_lshlrev_b32_sdwa v4, v85, v70 dst_sel:DWORD dst_unused:UNUSED_PAD src0_sel:DWORD src1_sel:WORD_0
	v_lshlrev_b32_e32 v8, 4, v71
	v_lshlrev_b32_sdwa v10, v85, v73 dst_sel:DWORD dst_unused:UNUSED_PAD src0_sel:DWORD src1_sel:WORD_0
	s_clause 0x3
	global_load_dwordx4 v[4:7], v4, s[2:3]
	global_load_dwordx4 v[16:19], v8, s[2:3]
	;; [unrolled: 1-line block ×4, first 2 shown]
	ds_read_b128 v[24:27], v231 offset:15840
	ds_read_b128 v[28:31], v231 offset:10560
	;; [unrolled: 1-line block ×4, first 2 shown]
	ds_read_b128 v[42:45], v231
	ds_read_b128 v[46:49], v231 offset:2640
	s_waitcnt vmcnt(3) lgkmcnt(5)
	v_mul_f64 v[50:51], v[26:27], v[6:7]
	s_waitcnt vmcnt(2) lgkmcnt(4)
	v_mul_f64 v[52:53], v[30:31], v[18:19]
	v_mul_f64 v[54:55], v[28:29], v[18:19]
	s_waitcnt vmcnt(1) lgkmcnt(3)
	v_mul_f64 v[56:57], v[34:35], v[14:15]
	v_mul_f64 v[58:59], v[32:33], v[14:15]
	;; [unrolled: 1-line block ×3, first 2 shown]
	s_waitcnt vmcnt(0) lgkmcnt(2)
	v_mul_f64 v[62:63], v[40:41], v[10:11]
	v_mul_f64 v[64:65], v[38:39], v[10:11]
	v_fma_f64 v[50:51], v[24:25], v[4:5], -v[50:51]
	v_fma_f64 v[52:53], v[28:29], v[16:17], -v[52:53]
	v_fma_f64 v[54:55], v[30:31], v[16:17], v[54:55]
	v_fma_f64 v[56:57], v[32:33], v[12:13], -v[56:57]
	v_fma_f64 v[58:59], v[34:35], v[12:13], v[58:59]
	v_fma_f64 v[60:61], v[26:27], v[4:5], v[60:61]
	v_fma_f64 v[62:63], v[38:39], v[8:9], -v[62:63]
	ds_read_b128 v[24:27], v231 offset:5280
	ds_read_b128 v[28:31], v231 offset:7920
	v_fma_f64 v[64:65], v[40:41], v[8:9], v[64:65]
	s_waitcnt lgkmcnt(0)
	s_barrier
	buffer_gl0_inv
	v_add_f64 v[32:33], v[42:43], -v[52:53]
	v_add_f64 v[34:35], v[44:45], -v[54:55]
	;; [unrolled: 1-line block ×8, first 2 shown]
	v_fma_f64 v[42:43], v[42:43], 2.0, -v[32:33]
	v_fma_f64 v[44:45], v[44:45], 2.0, -v[34:35]
	;; [unrolled: 1-line block ×7, first 2 shown]
	v_mov_b32_e32 v28, 22
	v_fma_f64 v[26:27], v[30:31], 2.0, -v[62:63]
	v_mad_u16 v29, v68, 22, v72
	v_mad_u16 v30, v67, 22, v70
	;; [unrolled: 1-line block ×3, first 2 shown]
	v_mul_u32_u24_sdwa v28, v66, v28 dst_sel:DWORD dst_unused:UNUSED_PAD src0_sel:WORD_0 src1_sel:DWORD
	v_lshlrev_b32_sdwa v237, v85, v29 dst_sel:DWORD dst_unused:UNUSED_PAD src0_sel:DWORD src1_sel:WORD_0
	v_lshlrev_b32_sdwa v236, v85, v30 dst_sel:DWORD dst_unused:UNUSED_PAD src0_sel:DWORD src1_sel:WORD_0
	;; [unrolled: 1-line block ×3, first 2 shown]
	v_add_lshl_u32 v238, v28, v71, 4
	ds_write_b128 v238, v[32:35] offset:176
	ds_write_b128 v238, v[42:45]
	ds_write_b128 v237, v[46:49]
	ds_write_b128 v237, v[38:41] offset:176
	ds_write_b128 v236, v[54:57]
	ds_write_b128 v236, v[50:53] offset:176
	;; [unrolled: 2-line block ×3, first 2 shown]
	s_waitcnt lgkmcnt(0)
	s_barrier
	buffer_gl0_inv
	ds_read_b128 v[28:31], v231
	ds_read_b128 v[32:35], v231 offset:2640
	ds_read_b128 v[64:67], v231 offset:7040
	;; [unrolled: 1-line block ×5, first 2 shown]
	s_and_saveexec_b32 s1, s0
	s_cbranch_execz .LBB0_9
; %bb.8:
	ds_read_b128 v[24:27], v231 offset:5280
	ds_read_b128 v[60:63], v231 offset:12320
	;; [unrolled: 1-line block ×3, first 2 shown]
.LBB0_9:
	s_or_b32 exec_lo, exec_lo, s1
	v_lshrrev_b16 v38, 1, v230
	v_lshrrev_b32_e32 v119, 20, v37
	v_lshrrev_b32_e32 v233, 20, v36
	s_mov_b32 s8, 0xe8584caa
	s_mov_b32 s9, 0x3febb67a
	v_and_b32_e32 v37, 0x7f, v38
	v_mul_lo_u16 v38, v119, 22
	s_mov_b32 s11, 0xbfebb67a
	s_mov_b32 s10, s8
	v_mul_lo_u16 v36, 0xbb, v37
	v_mul_lo_u16 v37, v233, 22
	v_sub_nc_u16 v120, v116, v38
	v_lshrrev_b16 v121, 11, v36
	v_sub_nc_u16 v234, v84, v37
	v_lshlrev_b16 v36, 5, v120
	v_mul_lo_u16 v37, v121, 22
	v_lshlrev_b16 v38, 5, v234
	v_and_b32_e32 v36, 0xffff, v36
	v_sub_nc_u16 v37, v230, v37
	v_and_b32_e32 v44, 0xffff, v38
	v_add_co_u32 v40, s1, s2, v36
	v_add_co_ci_u32_e64 v41, null, s3, 0, s1
	v_and_b32_e32 v122, 0xff, v37
	v_add_co_u32 v52, s1, s2, v44
	v_add_co_ci_u32_e64 v53, null, s3, 0, s1
	v_lshlrev_b32_e32 v45, 5, v122
	s_clause 0x5
	global_load_dwordx4 v[36:39], v[40:41], off offset:192
	global_load_dwordx4 v[40:43], v[40:41], off offset:176
	global_load_dwordx4 v[48:51], v45, s[2:3] offset:176
	global_load_dwordx4 v[44:47], v45, s[2:3] offset:192
	global_load_dwordx4 v[56:59], v[52:53], off offset:176
	global_load_dwordx4 v[52:55], v[52:53], off offset:192
	s_waitcnt vmcnt(0) lgkmcnt(0)
	s_barrier
	buffer_gl0_inv
	v_mul_f64 v[88:89], v[82:83], v[38:39]
	v_mul_f64 v[86:87], v[74:75], v[42:43]
	;; [unrolled: 1-line block ×12, first 2 shown]
	v_fma_f64 v[80:81], v[80:81], v[36:37], -v[88:89]
	v_fma_f64 v[72:73], v[72:73], v[40:41], -v[86:87]
	v_fma_f64 v[74:75], v[74:75], v[40:41], v[90:91]
	v_fma_f64 v[82:83], v[82:83], v[36:37], v[92:93]
	;; [unrolled: 1-line block ×4, first 2 shown]
	v_fma_f64 v[60:61], v[60:61], v[56:57], -v[102:103]
	v_fma_f64 v[86:87], v[20:21], v[52:53], -v[104:105]
	v_fma_f64 v[20:21], v[62:63], v[56:57], v[106:107]
	v_fma_f64 v[62:63], v[22:23], v[52:53], v[108:109]
	v_fma_f64 v[64:65], v[64:65], v[48:49], -v[94:95]
	v_fma_f64 v[68:69], v[68:69], v[44:45], -v[96:97]
	v_add_f64 v[22:23], v[72:73], v[80:81]
	v_add_f64 v[98:99], v[32:33], v[72:73]
	;; [unrolled: 1-line block ×3, first 2 shown]
	v_add_f64 v[100:101], v[74:75], -v[82:83]
	v_add_f64 v[92:93], v[66:67], v[70:71]
	v_add_f64 v[74:75], v[34:35], v[74:75]
	;; [unrolled: 1-line block ×9, first 2 shown]
	v_add_f64 v[72:73], v[72:73], -v[80:81]
	v_add_f64 v[64:65], v[64:65], -v[68:69]
	;; [unrolled: 1-line block ×5, first 2 shown]
	v_fma_f64 v[32:33], v[22:23], -0.5, v[32:33]
	v_add_f64 v[20:21], v[98:99], v[80:81]
	v_fma_f64 v[34:35], v[88:89], -0.5, v[34:35]
	v_fma_f64 v[92:93], v[92:93], -0.5, v[30:31]
	v_add_f64 v[22:23], v[74:75], v[82:83]
	v_fma_f64 v[94:95], v[94:95], -0.5, v[24:25]
	v_add_f64 v[88:89], v[102:103], v[86:87]
	v_fma_f64 v[117:118], v[96:97], -0.5, v[26:27]
	v_fma_f64 v[110:111], v[90:91], -0.5, v[28:29]
	v_add_f64 v[90:91], v[104:105], v[62:63]
	v_add_f64 v[24:25], v[106:107], v[68:69]
	;; [unrolled: 1-line block ×3, first 2 shown]
	v_fma_f64 v[80:81], v[100:101], s[10:11], v[32:33]
	v_fma_f64 v[28:29], v[100:101], s[8:9], v[32:33]
	;; [unrolled: 1-line block ×12, first 2 shown]
	v_mov_b32_e32 v64, 0x42
	v_mad_u16 v65, 0x42, v119, v120
	v_mul_u32_u24_sdwa v64, v121, v64 dst_sel:DWORD dst_unused:UNUSED_PAD src0_sel:WORD_0 src1_sel:DWORD
	v_lshlrev_b32_sdwa v239, v85, v65 dst_sel:DWORD dst_unused:UNUSED_PAD src0_sel:DWORD src1_sel:WORD_0
	v_add_lshl_u32 v240, v64, v122, 4
	ds_write_b128 v240, v[24:27]
	ds_write_b128 v240, v[32:35] offset:352
	ds_write_b128 v240, v[60:63] offset:704
	ds_write_b128 v239, v[20:23]
	ds_write_b128 v239, v[28:31] offset:352
	ds_write_b128 v239, v[80:83] offset:704
	s_and_saveexec_b32 s1, s0
	s_cbranch_execz .LBB0_11
; %bb.10:
	v_mov_b32_e32 v20, 0xba2f
	v_mov_b32_e32 v21, 4
	v_mul_u32_u24_sdwa v20, v84, v20 dst_sel:DWORD dst_unused:UNUSED_PAD src0_sel:WORD_0 src1_sel:DWORD
	v_lshrrev_b32_e32 v20, 20, v20
	v_mad_u16 v20, 0x42, v20, v234
	v_lshlrev_b32_sdwa v20, v21, v20 dst_sel:DWORD dst_unused:UNUSED_PAD src0_sel:DWORD src1_sel:WORD_0
	ds_write_b128 v20, v[88:91]
	ds_write_b128 v20, v[92:95] offset:352
	ds_write_b128 v20, v[96:99] offset:704
.LBB0_11:
	s_or_b32 exec_lo, exec_lo, s1
	s_waitcnt lgkmcnt(0)
	s_barrier
	buffer_gl0_inv
	ds_read_b128 v[84:87], v231
	ds_read_b128 v[112:115], v231 offset:4224
	ds_read_b128 v[108:111], v231 offset:8448
	;; [unrolled: 1-line block ×4, first 2 shown]
	v_cmp_gt_u16_e64 s1, 0x63, v230
	s_and_saveexec_b32 s8, s1
	s_cbranch_execz .LBB0_13
; %bb.12:
	ds_read_b128 v[80:83], v231 offset:2640
	ds_read_b128 v[88:91], v231 offset:6864
	;; [unrolled: 1-line block ×5, first 2 shown]
.LBB0_13:
	s_or_b32 exec_lo, exec_lo, s8
	v_and_b32_e32 v20, 0xff, v230
	v_mov_b32_e32 v21, 0xf83f
	s_mov_b32 s19, 0xbfee6f0e
	s_mov_b32 s10, 0x4755a5e
	;; [unrolled: 1-line block ×3, first 2 shown]
	v_mul_lo_u16 v20, 0xf9, v20
	v_mul_u32_u24_sdwa v21, v116, v21 dst_sel:DWORD dst_unused:UNUSED_PAD src0_sel:WORD_0 src1_sel:DWORD
	s_mov_b32 s17, 0xbfe2cf23
	s_mov_b32 s16, s10
	v_lshrrev_b16 v195, 14, v20
	v_lshrrev_b32_e32 v196, 22, v21
	v_mul_lo_u16 v20, 0x42, v195
	v_mul_lo_u16 v21, 0x42, v196
	v_sub_nc_u16 v20, v230, v20
	v_sub_nc_u16 v197, v116, v21
	v_and_b32_e32 v198, 0xff, v20
	v_lshlrev_b16 v20, 6, v197
	v_mad_u16 v241, 0x14a, v196, v197
	v_lshlrev_b32_e32 v21, 6, v198
	v_and_b32_e32 v20, 0xffff, v20
	s_clause 0x1
	global_load_dwordx4 v[60:63], v21, s[2:3] offset:896
	global_load_dwordx4 v[72:75], v21, s[2:3] offset:880
	v_add_co_u32 v24, s8, s2, v20
	v_add_co_ci_u32_e64 v25, null, s3, 0, s8
	s_clause 0x5
	global_load_dwordx4 v[68:71], v21, s[2:3] offset:912
	global_load_dwordx4 v[64:67], v21, s[2:3] offset:928
	global_load_dwordx4 v[20:23], v[24:25], off offset:880
	global_load_dwordx4 v[32:35], v[24:25], off offset:896
	;; [unrolled: 1-line block ×4, first 2 shown]
	s_mov_b32 s8, 0x134454ff
	s_mov_b32 s9, 0x3fee6f0e
	;; [unrolled: 1-line block ×3, first 2 shown]
	s_waitcnt vmcnt(0) lgkmcnt(0)
	s_barrier
	buffer_gl0_inv
	v_mul_f64 v[120:121], v[110:111], v[62:63]
	v_mul_f64 v[116:117], v[114:115], v[74:75]
	;; [unrolled: 1-line block ×16, first 2 shown]
	v_fma_f64 v[120:121], v[108:109], v[60:61], -v[120:121]
	v_fma_f64 v[112:113], v[112:113], v[72:73], -v[116:117]
	v_fma_f64 v[114:115], v[114:115], v[72:73], v[118:119]
	v_fma_f64 v[122:123], v[110:111], v[60:61], v[122:123]
	v_fma_f64 v[104:105], v[104:105], v[68:69], -v[124:125]
	v_fma_f64 v[106:107], v[106:107], v[68:69], v[126:127]
	v_fma_f64 v[100:101], v[100:101], v[64:65], -v[128:129]
	;; [unrolled: 2-line block ×5, first 2 shown]
	v_fma_f64 v[76:77], v[76:77], v[24:25], -v[142:143]
	v_fma_f64 v[90:91], v[98:99], v[28:29], v[144:145]
	v_fma_f64 v[78:79], v[78:79], v[24:25], v[146:147]
	v_add_f64 v[124:125], v[84:85], v[112:113]
	v_add_f64 v[126:127], v[112:113], -v[120:121]
	v_add_f64 v[142:143], v[120:121], -v[112:113]
	v_add_f64 v[96:97], v[120:121], v[104:105]
	v_add_f64 v[116:117], v[122:123], v[106:107]
	;; [unrolled: 1-line block ×4, first 2 shown]
	v_add_f64 v[128:129], v[114:115], -v[102:103]
	v_add_f64 v[130:131], v[122:123], -v[106:107]
	v_add_f64 v[146:147], v[86:87], v[114:115]
	v_add_f64 v[149:150], v[112:113], -v[100:101]
	v_add_f64 v[132:133], v[92:93], v[88:89]
	v_add_f64 v[134:135], v[108:109], v[76:77]
	v_add_f64 v[136:137], v[94:95], v[90:91]
	v_add_f64 v[138:139], v[110:111], v[78:79]
	v_add_f64 v[153:154], v[114:115], -v[122:123]
	v_add_f64 v[157:158], v[122:123], -v[114:115]
	;; [unrolled: 1-line block ×10, first 2 shown]
	v_fma_f64 v[161:162], v[96:97], -0.5, v[84:85]
	v_add_f64 v[96:97], v[110:111], -v[78:79]
	v_fma_f64 v[163:164], v[98:99], -0.5, v[84:85]
	v_fma_f64 v[165:166], v[116:117], -0.5, v[86:87]
	v_add_f64 v[98:99], v[108:109], -v[76:77]
	v_fma_f64 v[167:168], v[118:119], -0.5, v[86:87]
	v_add_f64 v[116:117], v[92:93], -v[88:89]
	v_add_f64 v[173:174], v[94:95], -v[110:111]
	v_fma_f64 v[84:85], v[132:133], -0.5, v[80:81]
	v_fma_f64 v[86:87], v[134:135], -0.5, v[80:81]
	;; [unrolled: 1-line block ×4, first 2 shown]
	v_add_f64 v[132:133], v[108:109], -v[92:93]
	v_add_f64 v[134:135], v[76:77], -v[88:89]
	;; [unrolled: 1-line block ×5, first 2 shown]
	v_add_f64 v[177:178], v[124:125], v[120:121]
	v_add_f64 v[146:147], v[146:147], v[122:123]
	;; [unrolled: 1-line block ×5, first 2 shown]
	v_fma_f64 v[179:180], v[128:129], s[8:9], v[161:162]
	v_fma_f64 v[161:162], v[128:129], s[18:19], v[161:162]
	v_fma_f64 v[181:182], v[130:131], s[18:19], v[163:164]
	v_fma_f64 v[163:164], v[130:131], s[8:9], v[163:164]
	v_fma_f64 v[183:184], v[149:150], s[18:19], v[165:166]
	v_fma_f64 v[165:166], v[149:150], s[8:9], v[165:166]
	v_fma_f64 v[185:186], v[151:152], s[8:9], v[167:168]
	v_fma_f64 v[167:168], v[151:152], s[18:19], v[167:168]
	v_fma_f64 v[187:188], v[96:97], s[18:19], v[84:85]
	v_fma_f64 v[189:190], v[112:113], s[8:9], v[86:87]
	v_fma_f64 v[191:192], v[98:99], s[8:9], v[114:115]
	v_fma_f64 v[193:194], v[116:117], s[18:19], v[118:119]
	v_add_f64 v[155:156], v[157:158], v[159:160]
	v_add_f64 v[120:121], v[132:133], v[134:135]
	;; [unrolled: 1-line block ×7, first 2 shown]
	v_fma_f64 v[132:133], v[130:131], s[10:11], v[179:180]
	v_fma_f64 v[134:135], v[130:131], s[16:17], v[161:162]
	v_fma_f64 v[138:139], v[128:129], s[10:11], v[181:182]
	v_fma_f64 v[144:145], v[128:129], s[16:17], v[163:164]
	v_fma_f64 v[146:147], v[151:152], s[16:17], v[183:184]
	v_fma_f64 v[151:152], v[151:152], s[10:11], v[165:166]
	v_fma_f64 v[157:158], v[149:150], s[16:17], v[185:186]
	v_fma_f64 v[149:150], v[149:150], s[10:11], v[167:168]
	v_fma_f64 v[159:160], v[112:113], s[16:17], v[187:188]
	v_fma_f64 v[161:162], v[96:97], s[16:17], v[189:190]
	v_fma_f64 v[163:164], v[116:117], s[10:11], v[191:192]
	v_fma_f64 v[165:166], v[98:99], s[10:11], v[193:194]
	s_mov_b32 s16, 0x372fe950
	s_mov_b32 s17, 0x3fd3c6ef
	v_add_f64 v[128:129], v[104:105], v[100:101]
	v_add_f64 v[130:131], v[106:107], v[102:103]
	v_fma_f64 v[132:133], v[140:141], s[16:17], v[132:133]
	v_fma_f64 v[136:137], v[140:141], s[16:17], v[134:135]
	;; [unrolled: 1-line block ×12, first 2 shown]
	v_mov_b32_e32 v149, 0x14a
	v_mul_u32_u24_sdwa v149, v195, v149 dst_sel:DWORD dst_unused:UNUSED_PAD src0_sel:WORD_0 src1_sel:DWORD
	v_add_lshl_u32 v242, v149, v198, 4
	ds_write_b128 v242, v[128:131]
	ds_write_b128 v242, v[132:135] offset:1056
	ds_write_b128 v242, v[140:143] offset:2112
	;; [unrolled: 1-line block ×4, first 2 shown]
	s_and_saveexec_b32 s18, s1
	s_cbranch_execz .LBB0_15
; %bb.14:
	v_add_f64 v[82:83], v[82:83], v[110:111]
	v_add_f64 v[80:81], v[80:81], v[108:109]
	v_mul_f64 v[130:131], v[98:99], s[8:9]
	v_mul_f64 v[108:109], v[96:97], s[8:9]
	;; [unrolled: 1-line block ×8, first 2 shown]
	v_add_f64 v[82:83], v[82:83], v[94:95]
	v_add_f64 v[80:81], v[80:81], v[92:93]
	v_add_f64 v[114:115], v[114:115], -v[130:131]
	v_add_f64 v[84:85], v[84:85], v[108:109]
	v_add_f64 v[118:119], v[128:129], v[118:119]
	v_add_f64 v[86:87], v[86:87], -v[110:111]
	v_mul_f64 v[92:93], v[120:121], s[16:17]
	v_mul_f64 v[108:109], v[124:125], s[16:17]
	;; [unrolled: 1-line block ×4, first 2 shown]
	v_add_f64 v[82:83], v[82:83], v[90:91]
	v_add_f64 v[90:91], v[80:81], v[88:89]
	v_add_f64 v[114:115], v[114:115], -v[116:117]
	v_add_f64 v[112:113], v[112:113], v[84:85]
	v_add_f64 v[98:99], v[118:119], -v[98:99]
	v_add_f64 v[96:97], v[96:97], v[86:87]
	v_add_f64 v[88:89], v[82:83], v[78:79]
	v_add_f64 v[86:87], v[90:91], v[76:77]
	v_add_f64 v[84:85], v[108:109], v[114:115]
	v_add_f64 v[82:83], v[92:93], v[112:113]
	v_add_f64 v[80:81], v[110:111], v[98:99]
	v_add_f64 v[78:79], v[94:95], v[96:97]
	v_mov_b32_e32 v76, 4
	v_lshlrev_b32_sdwa v76, v76, v241 dst_sel:DWORD dst_unused:UNUSED_PAD src0_sel:DWORD src1_sel:WORD_0
	ds_write_b128 v76, v[104:107] offset:3168
	ds_write_b128 v76, v[86:89]
	ds_write_b128 v76, v[82:85] offset:1056
	ds_write_b128 v76, v[78:81] offset:2112
	ds_write_b128 v76, v[100:103] offset:4224
.LBB0_15:
	s_or_b32 exec_lo, exec_lo, s18
	v_mad_u64_u32 v[84:85], null, v230, 48, s[2:3]
	s_waitcnt lgkmcnt(0)
	s_barrier
	buffer_gl0_inv
	v_add_co_u32 v76, s2, 0x1000, v84
	v_add_co_ci_u32_e64 v77, s2, 0, v85, s2
	v_add_co_u32 v86, s2, 0x13f0, v84
	v_add_co_ci_u32_e64 v87, s2, 0, v85, s2
	;; [unrolled: 2-line block ×4, first 2 shown]
	s_clause 0x5
	global_load_dwordx4 v[76:79], v[76:77], off offset:1008
	global_load_dwordx4 v[80:83], v[86:87], off offset:16
	;; [unrolled: 1-line block ×6, first 2 shown]
	ds_read_b128 v[108:111], v231 offset:5280
	ds_read_b128 v[112:115], v231 offset:10560
	;; [unrolled: 1-line block ×6, first 2 shown]
	ds_read_b128 v[132:135], v231
	ds_read_b128 v[136:139], v231 offset:2640
	s_waitcnt vmcnt(3) lgkmcnt(5)
	v_mul_f64 v[149:150], v[118:119], v[86:87]
	v_mul_f64 v[140:141], v[110:111], v[78:79]
	v_mul_f64 v[142:143], v[108:109], v[78:79]
	v_mul_f64 v[144:145], v[114:115], v[82:83]
	v_mul_f64 v[146:147], v[112:113], v[82:83]
	v_mul_f64 v[151:152], v[116:117], v[86:87]
	s_waitcnt vmcnt(2) lgkmcnt(4)
	v_mul_f64 v[153:154], v[122:123], v[90:91]
	v_mul_f64 v[155:156], v[120:121], v[90:91]
	s_waitcnt vmcnt(1) lgkmcnt(3)
	v_mul_f64 v[157:158], v[126:127], v[98:99]
	v_mul_f64 v[159:160], v[124:125], v[98:99]
	;; [unrolled: 3-line block ×3, first 2 shown]
	v_fma_f64 v[116:117], v[116:117], v[84:85], -v[149:150]
	v_fma_f64 v[108:109], v[108:109], v[76:77], -v[140:141]
	v_fma_f64 v[110:111], v[110:111], v[76:77], v[142:143]
	v_fma_f64 v[112:113], v[112:113], v[80:81], -v[144:145]
	v_fma_f64 v[114:115], v[114:115], v[80:81], v[146:147]
	v_fma_f64 v[118:119], v[118:119], v[84:85], v[151:152]
	v_fma_f64 v[120:121], v[120:121], v[88:89], -v[153:154]
	v_fma_f64 v[122:123], v[122:123], v[88:89], v[155:156]
	v_fma_f64 v[124:125], v[124:125], v[96:97], -v[157:158]
	;; [unrolled: 2-line block ×3, first 2 shown]
	v_fma_f64 v[130:131], v[130:131], v[92:93], v[163:164]
	v_add_f64 v[116:117], v[108:109], -v[116:117]
	s_waitcnt lgkmcnt(1)
	v_add_f64 v[112:113], v[132:133], -v[112:113]
	v_add_f64 v[114:115], v[134:135], -v[114:115]
	;; [unrolled: 1-line block ×3, first 2 shown]
	s_waitcnt lgkmcnt(0)
	v_add_f64 v[144:145], v[136:137], -v[124:125]
	v_add_f64 v[146:147], v[138:139], -v[126:127]
	;; [unrolled: 1-line block ×4, first 2 shown]
	v_fma_f64 v[108:109], v[108:109], 2.0, -v[116:117]
	v_fma_f64 v[132:133], v[132:133], 2.0, -v[112:113]
	;; [unrolled: 1-line block ×4, first 2 shown]
	v_add_f64 v[124:125], v[112:113], -v[118:119]
	v_add_f64 v[126:127], v[114:115], v[116:117]
	v_fma_f64 v[149:150], v[136:137], 2.0, -v[144:145]
	v_fma_f64 v[151:152], v[138:139], 2.0, -v[146:147]
	;; [unrolled: 1-line block ×4, first 2 shown]
	v_add_f64 v[116:117], v[144:145], -v[130:131]
	v_add_f64 v[118:119], v[146:147], v[128:129]
	v_add_f64 v[136:137], v[132:133], -v[108:109]
	v_add_f64 v[138:139], v[134:135], -v[110:111]
	v_fma_f64 v[140:141], v[112:113], 2.0, -v[124:125]
	v_fma_f64 v[142:143], v[114:115], 2.0, -v[126:127]
	v_add_f64 v[120:121], v[149:150], -v[120:121]
	v_add_f64 v[122:123], v[151:152], -v[122:123]
	v_fma_f64 v[128:129], v[144:145], 2.0, -v[116:117]
	v_fma_f64 v[130:131], v[146:147], 2.0, -v[118:119]
	;; [unrolled: 1-line block ×6, first 2 shown]
	ds_write_b128 v231, v[124:127] offset:15840
	ds_write_b128 v231, v[116:119] offset:18480
	;; [unrolled: 1-line block ×6, first 2 shown]
	ds_write_b128 v231, v[108:111]
	ds_write_b128 v231, v[132:135] offset:2640
	s_waitcnt lgkmcnt(0)
	s_barrier
	buffer_gl0_inv
	s_and_saveexec_b32 s3, vcc_lo
	s_cbranch_execz .LBB0_17
; %bb.16:
	v_add_co_u32 v179, s2, s14, v229
	v_add_co_ci_u32_e64 v180, null, s15, 0, s2
	v_add_co_u32 v112, s2, 0x5000, v179
	v_add_co_ci_u32_e64 v113, s2, 0, v180, s2
	v_add_co_u32 v144, s2, 0x5280, v179
	v_add_co_ci_u32_e64 v145, s2, 0, v180, s2
	global_load_dwordx4 v[112:115], v[112:113], off offset:640
	v_add_co_u32 v149, s2, 0x6000, v179
	global_load_dwordx4 v[144:147], v[144:145], off offset:1920
	v_add_co_ci_u32_e64 v150, s2, 0, v180, s2
	v_add_co_u32 v153, s2, 0x6800, v179
	v_add_co_ci_u32_e64 v154, s2, 0, v180, s2
	global_load_dwordx4 v[149:152], v[149:150], off offset:384
	v_add_co_u32 v157, s2, 0x7000, v179
	global_load_dwordx4 v[153:156], v[153:154], off offset:256
	v_add_co_ci_u32_e64 v158, s2, 0, v180, s2
	v_add_co_u32 v165, s2, 0x7800, v179
	v_add_co_ci_u32_e64 v166, s2, 0, v180, s2
	s_clause 0x2
	global_load_dwordx4 v[157:160], v[157:158], off offset:128
	global_load_dwordx4 v[161:164], v[165:166], off
	global_load_dwordx4 v[165:168], v[165:166], off offset:1920
	v_add_co_u32 v169, s2, 0x8000, v179
	v_add_co_ci_u32_e64 v170, s2, 0, v180, s2
	v_add_co_u32 v173, s2, 0x8800, v179
	v_add_co_ci_u32_e64 v174, s2, 0, v180, s2
	global_load_dwordx4 v[169:172], v[169:170], off offset:1792
	v_add_co_u32 v177, s2, 0x9000, v179
	global_load_dwordx4 v[173:176], v[173:174], off offset:1664
	v_add_co_ci_u32_e64 v178, s2, 0, v180, s2
	v_add_co_u32 v181, s2, 0x9800, v179
	v_add_co_ci_u32_e64 v182, s2, 0, v180, s2
	s_clause 0x1
	global_load_dwordx4 v[177:180], v[177:178], off offset:1536
	global_load_dwordx4 v[181:184], v[181:182], off offset:1408
	ds_read_b128 v[185:188], v231
	s_waitcnt vmcnt(10) lgkmcnt(0)
	v_mul_f64 v[189:190], v[187:188], v[114:115]
	v_mul_f64 v[114:115], v[185:186], v[114:115]
	v_fma_f64 v[185:186], v[185:186], v[112:113], -v[189:190]
	v_fma_f64 v[187:188], v[187:188], v[112:113], v[114:115]
	ds_write_b128 v231, v[185:188]
	ds_read_b128 v[112:115], v229 offset:1920
	ds_read_b128 v[185:188], v229 offset:3840
	s_waitcnt vmcnt(9) lgkmcnt(1)
	v_mul_f64 v[189:190], v[114:115], v[146:147]
	v_mul_f64 v[146:147], v[112:113], v[146:147]
	s_waitcnt vmcnt(8) lgkmcnt(0)
	v_mul_f64 v[193:194], v[187:188], v[151:152]
	v_mul_f64 v[151:152], v[185:186], v[151:152]
	v_fma_f64 v[112:113], v[112:113], v[144:145], -v[189:190]
	v_fma_f64 v[114:115], v[114:115], v[144:145], v[146:147]
	ds_read_b128 v[144:147], v229 offset:5760
	ds_read_b128 v[189:192], v229 offset:7680
	v_fma_f64 v[185:186], v[185:186], v[149:150], -v[193:194]
	v_fma_f64 v[187:188], v[187:188], v[149:150], v[151:152]
	s_waitcnt vmcnt(7) lgkmcnt(1)
	v_mul_f64 v[149:150], v[146:147], v[155:156]
	v_mul_f64 v[151:152], v[144:145], v[155:156]
	s_waitcnt vmcnt(6) lgkmcnt(0)
	v_mul_f64 v[193:194], v[191:192], v[159:160]
	v_mul_f64 v[159:160], v[189:190], v[159:160]
	v_fma_f64 v[144:145], v[144:145], v[153:154], -v[149:150]
	v_fma_f64 v[146:147], v[146:147], v[153:154], v[151:152]
	ds_read_b128 v[149:152], v229 offset:9600
	ds_read_b128 v[153:156], v229 offset:11520
	v_fma_f64 v[189:190], v[189:190], v[157:158], -v[193:194]
	v_fma_f64 v[191:192], v[191:192], v[157:158], v[159:160]
	;; [unrolled: 12-line block ×4, first 2 shown]
	s_waitcnt vmcnt(1) lgkmcnt(1)
	v_mul_f64 v[173:174], v[167:168], v[179:180]
	v_mul_f64 v[175:176], v[165:166], v[179:180]
	s_waitcnt vmcnt(0) lgkmcnt(0)
	v_mul_f64 v[179:180], v[171:172], v[183:184]
	v_mul_f64 v[183:184], v[169:170], v[183:184]
	v_fma_f64 v[165:166], v[165:166], v[177:178], -v[173:174]
	v_fma_f64 v[167:168], v[167:168], v[177:178], v[175:176]
	v_fma_f64 v[169:170], v[169:170], v[181:182], -v[179:180]
	v_fma_f64 v[171:172], v[171:172], v[181:182], v[183:184]
	ds_write_b128 v229, v[112:115] offset:1920
	ds_write_b128 v229, v[185:188] offset:3840
	ds_write_b128 v229, v[144:147] offset:5760
	ds_write_b128 v229, v[189:192] offset:7680
	ds_write_b128 v229, v[149:152] offset:9600
	ds_write_b128 v229, v[153:156] offset:11520
	ds_write_b128 v229, v[157:160] offset:13440
	ds_write_b128 v229, v[161:164] offset:15360
	ds_write_b128 v229, v[165:168] offset:17280
	ds_write_b128 v229, v[169:172] offset:19200
.LBB0_17:
	s_or_b32 exec_lo, exec_lo, s3
	s_waitcnt lgkmcnt(0)
	s_barrier
	buffer_gl0_inv
	s_and_saveexec_b32 s2, vcc_lo
	s_cbranch_execz .LBB0_19
; %bb.18:
	ds_read_b128 v[108:111], v231
	ds_read_b128 v[140:143], v231 offset:1920
	ds_read_b128 v[136:139], v231 offset:3840
	;; [unrolled: 1-line block ×10, first 2 shown]
.LBB0_19:
	s_or_b32 exec_lo, exec_lo, s2
	s_waitcnt lgkmcnt(0)
	v_add_f64 v[165:166], v[142:143], -v[2:3]
	s_mov_b32 s16, 0x8eee2c13
	s_mov_b32 s17, 0xbfed1bb4
	v_add_f64 v[163:164], v[0:1], v[140:141]
	v_add_f64 v[153:154], v[138:139], -v[102:103]
	s_mov_b32 s2, 0xd9c712b6
	s_mov_b32 s18, 0xbb3a28a1
	;; [unrolled: 1-line block ×4, first 2 shown]
	v_add_f64 v[149:150], v[100:101], v[136:137]
	v_add_f64 v[189:190], v[2:3], v[142:143]
	s_mov_b32 s8, 0x7f775887
	s_mov_b32 s9, 0xbfe4f49e
	v_add_f64 v[193:194], v[140:141], -v[0:1]
	v_add_f64 v[151:152], v[102:103], v[138:139]
	v_add_f64 v[157:158], v[136:137], -v[100:101]
	v_add_f64 v[167:168], v[126:127], -v[106:107]
	s_mov_b32 s23, 0x3fd207e7
	s_mov_b32 s22, 0xfd768dbf
	v_add_f64 v[155:156], v[124:125], v[104:105]
	v_add_f64 v[159:160], v[126:127], v[106:107]
	s_mov_b32 s10, 0x9bcd5057
	v_mul_f64 v[191:192], v[165:166], s[16:17]
	s_mov_b32 s11, 0xbfeeb42a
	v_add_f64 v[171:172], v[124:125], -v[104:105]
	v_add_f64 v[183:184], v[134:135], -v[118:119]
	v_mul_f64 v[161:162], v[153:154], s[18:19]
	s_mov_b32 s24, 0x43842ef
	s_mov_b32 s25, 0xbfefac9e
	;; [unrolled: 1-line block ×4, first 2 shown]
	v_add_f64 v[173:174], v[132:133], v[116:117]
	v_mul_f64 v[195:196], v[189:190], s[2:3]
	v_add_f64 v[175:176], v[134:135], v[118:119]
	s_mov_b32 s20, 0x640f44db
	s_mov_b32 s21, 0xbfc2375f
	v_mul_f64 v[169:170], v[151:152], s[8:9]
	v_add_f64 v[187:188], v[132:133], -v[116:117]
	v_mul_f64 v[177:178], v[167:168], s[22:23]
	v_add_f64 v[199:200], v[130:131], -v[122:123]
	s_mov_b32 s36, 0xf8bb580b
	s_mov_b32 s37, 0xbfe14ced
	v_mul_f64 v[179:180], v[159:160], s[10:11]
	s_mov_b32 s31, 0x3fe14ced
	v_fma_f64 v[112:113], v[163:164], s[2:3], -v[191:192]
	s_mov_b32 s30, s36
	v_add_f64 v[181:182], v[120:121], v[128:129]
	v_mul_f64 v[197:198], v[183:184], s[28:29]
	v_fma_f64 v[114:115], v[149:150], s[8:9], -v[161:162]
	v_add_f64 v[185:186], v[122:123], v[130:131]
	s_mov_b32 s26, 0x8764f0ba
	s_mov_b32 s27, 0x3feaeb8c
	v_add_f64 v[203:204], v[128:129], -v[120:121]
	v_mul_f64 v[225:226], v[165:166], s[24:25]
	v_mul_f64 v[209:210], v[153:154], s[22:23]
	;; [unrolled: 1-line block ×5, first 2 shown]
	v_fma_f64 v[144:145], v[157:158], s[18:19], v[169:170]
	s_mov_b32 s35, 0x3fed1bb4
	s_mov_b32 s34, s16
	v_mul_f64 v[205:206], v[199:200], s[30:31]
	v_mul_f64 v[217:218], v[159:160], s[2:3]
	v_mul_f64 v[221:222], v[175:176], s[26:27]
	s_barrier
	v_add_f64 v[112:113], v[108:109], v[112:113]
	buffer_gl0_inv
	v_mul_f64 v[207:208], v[185:186], s[26:27]
	v_fma_f64 v[146:147], v[149:150], s[10:11], -v[209:210]
	v_fma_f64 v[213:214], v[157:158], s[22:23], v[211:212]
	v_add_f64 v[112:113], v[114:115], v[112:113]
	v_fma_f64 v[114:115], v[193:194], s[16:17], v[195:196]
	v_add_f64 v[114:115], v[110:111], v[114:115]
	v_add_f64 v[114:115], v[144:145], v[114:115]
	v_fma_f64 v[144:145], v[155:156], s[10:11], -v[177:178]
	v_add_f64 v[112:113], v[144:145], v[112:113]
	v_fma_f64 v[144:145], v[171:172], s[22:23], v[179:180]
	v_add_f64 v[114:115], v[144:145], v[114:115]
	v_fma_f64 v[144:145], v[173:174], s[20:21], -v[197:198]
	v_add_f64 v[112:113], v[144:145], v[112:113]
	v_fma_f64 v[144:145], v[187:188], s[28:29], v[201:202]
	;; [unrolled: 4-line block ×3, first 2 shown]
	v_add_f64 v[114:115], v[144:145], v[114:115]
	v_fma_f64 v[144:145], v[163:164], s[20:21], -v[225:226]
	v_add_f64 v[144:145], v[108:109], v[144:145]
	v_add_f64 v[144:145], v[146:147], v[144:145]
	v_fma_f64 v[146:147], v[193:194], s[24:25], v[227:228]
	v_add_f64 v[146:147], v[110:111], v[146:147]
	v_add_f64 v[146:147], v[213:214], v[146:147]
	v_mul_f64 v[213:214], v[167:168], s[34:35]
	v_fma_f64 v[215:216], v[155:156], s[2:3], -v[213:214]
	v_add_f64 v[144:145], v[215:216], v[144:145]
	v_fma_f64 v[215:216], v[171:172], s[34:35], v[217:218]
	v_add_f64 v[146:147], v[215:216], v[146:147]
	v_mul_f64 v[215:216], v[183:184], s[36:37]
	v_fma_f64 v[219:220], v[173:174], s[26:27], -v[215:216]
	v_add_f64 v[144:145], v[219:220], v[144:145]
	v_fma_f64 v[219:220], v[187:188], s[36:37], v[221:222]
	v_add_f64 v[146:147], v[219:220], v[146:147]
	v_mul_f64 v[219:220], v[199:200], s[18:19]
	v_fma_f64 v[223:224], v[181:182], s[8:9], -v[219:220]
	v_add_f64 v[144:145], v[223:224], v[144:145]
	v_mul_f64 v[223:224], v[185:186], s[8:9]
	v_fma_f64 v[243:244], v[203:204], s[18:19], v[223:224]
	v_add_f64 v[146:147], v[243:244], v[146:147]
	s_and_saveexec_b32 s33, vcc_lo
	s_cbranch_execz .LBB0_21
; %bb.20:
	v_add_f64 v[142:143], v[110:111], v[142:143]
	v_add_f64 v[140:141], v[108:109], v[140:141]
	v_mul_f64 v[245:246], v[203:204], s[34:35]
	v_mul_f64 v[247:248], v[199:200], s[34:35]
	v_add_f64 v[138:139], v[138:139], v[142:143]
	v_add_f64 v[136:137], v[136:137], v[140:141]
	;; [unrolled: 1-line block ×6, first 2 shown]
	v_mul_f64 v[132:133], v[165:166], s[18:19]
	v_mul_f64 v[134:135], v[165:166], s[36:37]
	v_add_f64 v[126:127], v[130:131], v[126:127]
	v_add_f64 v[124:125], v[128:129], v[124:125]
	v_fma_f64 v[138:139], v[163:164], s[8:9], -v[132:133]
	v_fma_f64 v[132:133], v[163:164], s[8:9], v[132:133]
	v_fma_f64 v[140:141], v[163:164], s[26:27], -v[134:135]
	v_fma_f64 v[134:135], v[163:164], s[26:27], v[134:135]
	v_add_f64 v[122:123], v[122:123], v[126:127]
	v_add_f64 v[120:121], v[120:121], v[124:125]
	;; [unrolled: 1-line block ×8, first 2 shown]
	v_mul_f64 v[120:121], v[193:194], s[18:19]
	v_mul_f64 v[122:123], v[193:194], s[36:37]
	v_add_f64 v[106:107], v[106:107], v[118:119]
	v_add_f64 v[104:105], v[104:105], v[116:117]
	v_mul_f64 v[116:117], v[157:158], s[22:23]
	v_mul_f64 v[118:119], v[171:172], s[22:23]
	s_mov_b32 s23, 0xbfd207e7
	v_fma_f64 v[126:127], v[189:190], s[8:9], v[120:121]
	v_mul_f64 v[124:125], v[193:194], s[22:23]
	v_fma_f64 v[120:121], v[189:190], s[8:9], -v[120:121]
	v_mul_f64 v[136:137], v[165:166], s[22:23]
	v_fma_f64 v[128:129], v[189:190], s[26:27], v[122:123]
	v_fma_f64 v[122:123], v[189:190], s[26:27], -v[122:123]
	v_mul_f64 v[243:244], v[183:184], s[22:23]
	v_add_f64 v[102:103], v[102:103], v[106:107]
	v_add_f64 v[100:101], v[100:101], v[104:105]
	v_mul_f64 v[104:105], v[193:194], s[16:17]
	v_mul_f64 v[106:107], v[163:164], s[2:3]
	v_add_f64 v[126:127], v[110:111], v[126:127]
	v_fma_f64 v[130:131], v[189:190], s[10:11], v[124:125]
	v_add_f64 v[120:121], v[110:111], v[120:121]
	v_fma_f64 v[142:143], v[163:164], s[10:11], -v[136:137]
	v_fma_f64 v[136:137], v[163:164], s[10:11], v[136:137]
	v_fma_f64 v[124:125], v[189:190], s[10:11], -v[124:125]
	v_add_f64 v[128:129], v[110:111], v[128:129]
	v_add_f64 v[122:123], v[110:111], v[122:123]
	;; [unrolled: 1-line block ×3, first 2 shown]
	v_mul_f64 v[102:103], v[163:164], s[20:21]
	v_add_f64 v[0:1], v[0:1], v[100:101]
	v_mul_f64 v[100:101], v[193:194], s[24:25]
	v_add_f64 v[104:105], v[195:196], -v[104:105]
	v_mul_f64 v[195:196], v[153:154], s[28:29]
	v_mul_f64 v[193:194], v[157:158], s[28:29]
	v_add_f64 v[106:107], v[106:107], v[191:192]
	v_add_f64 v[130:131], v[110:111], v[130:131]
	;; [unrolled: 1-line block ×6, first 2 shown]
	v_mul_f64 v[225:226], v[167:168], s[36:37]
	v_add_f64 v[100:101], v[227:228], -v[100:101]
	v_add_f64 v[189:190], v[110:111], v[104:105]
	v_mul_f64 v[227:228], v[187:188], s[22:23]
	v_add_f64 v[191:192], v[108:109], v[106:107]
	v_mul_f64 v[106:107], v[187:188], s[36:37]
	v_add_f64 v[165:166], v[108:109], v[102:103]
	v_fma_f64 v[102:103], v[149:150], s[20:21], v[195:196]
	v_add_f64 v[163:164], v[110:111], v[100:101]
	v_fma_f64 v[100:101], v[151:152], s[20:21], -v[193:194]
	v_add_f64 v[110:111], v[211:212], -v[116:117]
	v_mul_f64 v[116:117], v[149:150], s[10:11]
	v_mul_f64 v[108:109], v[171:172], s[34:35]
	v_add_f64 v[106:107], v[221:222], -v[106:107]
	v_add_f64 v[102:103], v[102:103], v[132:133]
	v_mul_f64 v[132:133], v[171:172], s[36:37]
	v_add_f64 v[100:101], v[100:101], v[120:121]
	v_mul_f64 v[120:121], v[155:156], s[2:3]
	v_add_f64 v[116:117], v[116:117], v[209:210]
	v_add_f64 v[108:109], v[217:218], -v[108:109]
	v_add_f64 v[110:111], v[110:111], v[163:164]
	v_mul_f64 v[163:164], v[173:174], s[26:27]
	v_fma_f64 v[104:105], v[159:160], s[26:27], -v[132:133]
	v_fma_f64 v[132:133], v[159:160], s[26:27], v[132:133]
	v_add_f64 v[120:121], v[120:121], v[213:214]
	v_add_f64 v[116:117], v[116:117], v[165:166]
	v_mul_f64 v[165:166], v[167:168], s[24:25]
	v_add_f64 v[108:109], v[108:109], v[110:111]
	v_add_f64 v[163:164], v[163:164], v[215:216]
	;; [unrolled: 1-line block ×3, first 2 shown]
	v_fma_f64 v[104:105], v[155:156], s[26:27], v[225:226]
	v_add_f64 v[110:111], v[120:121], v[116:117]
	v_mul_f64 v[116:117], v[181:182], s[8:9]
	v_add_f64 v[106:107], v[106:107], v[108:109]
	v_mul_f64 v[120:121], v[149:150], s[8:9]
	v_add_f64 v[102:103], v[104:105], v[102:103]
	v_fma_f64 v[104:105], v[175:176], s[10:11], -v[227:228]
	v_add_f64 v[108:109], v[163:164], v[110:111]
	v_add_f64 v[116:117], v[116:117], v[219:220]
	v_mul_f64 v[110:111], v[187:188], s[28:29]
	v_add_f64 v[120:121], v[120:121], v[161:162]
	v_mul_f64 v[161:162], v[155:156], s[10:11]
	v_mul_f64 v[163:164], v[173:174], s[20:21]
	v_add_f64 v[100:101], v[104:105], v[100:101]
	v_fma_f64 v[104:105], v[173:174], s[10:11], v[243:244]
	v_add_f64 v[110:111], v[201:202], -v[110:111]
	v_add_f64 v[120:121], v[120:121], v[191:192]
	v_add_f64 v[161:162], v[161:162], v[177:178]
	;; [unrolled: 1-line block ×3, first 2 shown]
	v_mul_f64 v[177:178], v[183:184], s[18:19]
	v_mul_f64 v[191:192], v[199:200], s[24:25]
	v_add_f64 v[104:105], v[104:105], v[102:103]
	v_fma_f64 v[102:103], v[185:186], s[2:3], -v[245:246]
	v_add_f64 v[102:103], v[102:103], v[100:101]
	v_fma_f64 v[100:101], v[181:182], s[2:3], v[247:248]
	v_add_f64 v[100:101], v[100:101], v[104:105]
	v_mul_f64 v[104:105], v[203:204], s[18:19]
	v_add_f64 v[104:105], v[223:224], -v[104:105]
	v_add_f64 v[106:107], v[104:105], v[106:107]
	v_add_f64 v[104:105], v[116:117], v[108:109]
	v_add_f64 v[116:117], v[179:180], -v[118:119]
	v_mul_f64 v[118:119], v[157:158], s[18:19]
	v_mul_f64 v[108:109], v[203:204], s[30:31]
	;; [unrolled: 1-line block ×3, first 2 shown]
	v_add_f64 v[118:119], v[169:170], -v[118:119]
	v_add_f64 v[108:109], v[207:208], -v[108:109]
	v_mul_f64 v[169:170], v[187:188], s[18:19]
	v_add_f64 v[118:119], v[118:119], v[189:190]
	v_mul_f64 v[189:190], v[199:200], s[22:23]
	v_add_f64 v[116:117], v[116:117], v[118:119]
	v_add_f64 v[118:119], v[161:162], v[120:121]
	v_mul_f64 v[120:121], v[181:182], s[26:27]
	v_mul_f64 v[161:162], v[157:158], s[16:17]
	;; [unrolled: 1-line block ×3, first 2 shown]
	v_add_f64 v[110:111], v[110:111], v[116:117]
	v_add_f64 v[116:117], v[163:164], v[118:119]
	v_mul_f64 v[163:164], v[153:154], s[16:17]
	v_add_f64 v[120:121], v[120:121], v[205:206]
	v_add_f64 v[110:111], v[108:109], v[110:111]
	v_fma_f64 v[118:119], v[149:150], s[2:3], v[163:164]
	v_add_f64 v[108:109], v[120:121], v[116:117]
	v_fma_f64 v[116:117], v[151:152], s[2:3], -v[161:162]
	v_add_f64 v[118:119], v[118:119], v[134:135]
	v_mul_f64 v[134:135], v[171:172], s[24:25]
	v_add_f64 v[116:117], v[116:117], v[122:123]
	v_fma_f64 v[120:121], v[159:160], s[20:21], -v[134:135]
	v_fma_f64 v[134:135], v[159:160], s[20:21], v[134:135]
	v_add_f64 v[116:117], v[120:121], v[116:117]
	v_fma_f64 v[120:121], v[155:156], s[20:21], v[165:166]
	v_add_f64 v[118:119], v[120:121], v[118:119]
	v_fma_f64 v[120:121], v[175:176], s[8:9], -v[169:170]
	v_add_f64 v[116:117], v[120:121], v[116:117]
	v_fma_f64 v[120:121], v[173:174], s[8:9], v[177:178]
	v_add_f64 v[120:121], v[120:121], v[118:119]
	v_fma_f64 v[118:119], v[185:186], s[10:11], -v[179:180]
	v_add_f64 v[118:119], v[118:119], v[116:117]
	v_fma_f64 v[116:117], v[181:182], s[10:11], v[189:190]
	v_add_f64 v[116:117], v[116:117], v[120:121]
	v_fma_f64 v[120:121], v[151:152], s[26:27], v[157:158]
	v_fma_f64 v[157:158], v[151:152], s[26:27], -v[157:158]
	v_add_f64 v[120:121], v[120:121], v[130:131]
	v_mul_f64 v[130:131], v[153:154], s[30:31]
	v_add_f64 v[124:125], v[157:158], v[124:125]
	v_fma_f64 v[122:123], v[149:150], s[26:27], -v[130:131]
	v_fma_f64 v[130:131], v[149:150], s[26:27], v[130:131]
	v_add_f64 v[122:123], v[122:123], v[142:143]
	v_mul_f64 v[142:143], v[171:172], s[18:19]
	v_add_f64 v[130:131], v[130:131], v[136:137]
	v_fma_f64 v[153:154], v[159:160], s[8:9], v[142:143]
	v_fma_f64 v[142:143], v[159:160], s[8:9], -v[142:143]
	v_add_f64 v[120:121], v[153:154], v[120:121]
	v_mul_f64 v[153:154], v[167:168], s[18:19]
	v_add_f64 v[124:125], v[142:143], v[124:125]
	v_fma_f64 v[142:143], v[175:176], s[8:9], v[169:170]
	v_fma_f64 v[167:168], v[155:156], s[8:9], -v[153:154]
	v_fma_f64 v[136:137], v[155:156], s[8:9], v[153:154]
	v_fma_f64 v[153:154], v[155:156], s[20:21], -v[165:166]
	v_add_f64 v[122:123], v[167:168], v[122:123]
	v_mul_f64 v[167:168], v[187:188], s[34:35]
	v_mul_f64 v[187:188], v[203:204], s[24:25]
	v_add_f64 v[130:131], v[136:137], v[130:131]
	v_fma_f64 v[171:172], v[175:176], s[2:3], v[167:168]
	v_fma_f64 v[136:137], v[175:176], s[2:3], -v[167:168]
	v_add_f64 v[120:121], v[171:172], v[120:121]
	v_mul_f64 v[171:172], v[183:184], s[34:35]
	v_add_f64 v[124:125], v[136:137], v[124:125]
	v_fma_f64 v[136:137], v[185:186], s[2:3], v[245:246]
	v_fma_f64 v[183:184], v[173:174], s[2:3], -v[171:172]
	v_add_f64 v[183:184], v[183:184], v[122:123]
	v_fma_f64 v[122:123], v[185:186], s[20:21], v[187:188]
	v_add_f64 v[122:123], v[122:123], v[120:121]
	v_fma_f64 v[120:121], v[181:182], s[20:21], -v[191:192]
	v_add_f64 v[120:121], v[120:121], v[183:184]
	v_fma_f64 v[183:184], v[151:152], s[20:21], v[193:194]
	v_fma_f64 v[151:152], v[151:152], s[2:3], v[161:162]
	v_fma_f64 v[161:162], v[149:150], s[20:21], -v[195:196]
	v_fma_f64 v[149:150], v[149:150], s[2:3], -v[163:164]
	v_add_f64 v[126:127], v[183:184], v[126:127]
	v_add_f64 v[128:129], v[151:152], v[128:129]
	;; [unrolled: 1-line block ×3, first 2 shown]
	v_fma_f64 v[151:152], v[155:156], s[26:27], -v[225:226]
	v_add_f64 v[140:141], v[149:150], v[140:141]
	v_fma_f64 v[149:150], v[173:174], s[10:11], -v[243:244]
	v_add_f64 v[126:127], v[132:133], v[126:127]
	v_add_f64 v[128:129], v[134:135], v[128:129]
	v_fma_f64 v[134:135], v[173:174], s[2:3], v[171:172]
	v_add_f64 v[132:133], v[151:152], v[138:139]
	v_fma_f64 v[138:139], v[175:176], s[10:11], v[227:228]
	v_fma_f64 v[151:152], v[173:174], s[8:9], -v[177:178]
	v_add_f64 v[140:141], v[153:154], v[140:141]
	v_fma_f64 v[153:154], v[181:182], s[10:11], -v[189:190]
	v_add_f64 v[142:143], v[142:143], v[128:129]
	v_add_f64 v[130:131], v[134:135], v[130:131]
	v_fma_f64 v[128:129], v[181:182], s[20:21], v[191:192]
	v_add_f64 v[134:135], v[138:139], v[126:127]
	v_fma_f64 v[126:127], v[185:186], s[20:21], -v[187:188]
	v_add_f64 v[132:133], v[149:150], v[132:133]
	v_fma_f64 v[149:150], v[181:182], s[2:3], -v[247:248]
	v_fma_f64 v[138:139], v[185:186], s[10:11], v[179:180]
	v_add_f64 v[140:141], v[151:152], v[140:141]
	v_add_f64 v[126:127], v[126:127], v[124:125]
	;; [unrolled: 1-line block ×7, first 2 shown]
	v_mov_b32_e32 v136, 4
	v_lshlrev_b32_sdwa v136, v136, v232 dst_sel:DWORD dst_unused:UNUSED_PAD src0_sel:DWORD src1_sel:WORD_0
	ds_write_b128 v136, v[0:3]
	ds_write_b128 v136, v[116:119] offset:16
	ds_write_b128 v136, v[108:111] offset:32
	;; [unrolled: 1-line block ×10, first 2 shown]
.LBB0_21:
	s_or_b32 exec_lo, exec_lo, s33
	s_waitcnt lgkmcnt(0)
	s_barrier
	buffer_gl0_inv
	ds_read_b128 v[0:3], v231 offset:10560
	ds_read_b128 v[100:103], v231 offset:13200
	;; [unrolled: 1-line block ×4, first 2 shown]
	ds_read_b128 v[116:119], v231
	ds_read_b128 v[120:123], v231 offset:2640
	s_waitcnt lgkmcnt(5)
	v_mul_f64 v[124:125], v[18:19], v[2:3]
	v_mul_f64 v[18:19], v[18:19], v[0:1]
	s_waitcnt lgkmcnt(4)
	v_mul_f64 v[126:127], v[14:15], v[102:103]
	v_mul_f64 v[14:15], v[14:15], v[100:101]
	;; [unrolled: 3-line block ×4, first 2 shown]
	v_fma_f64 v[124:125], v[16:17], v[0:1], v[124:125]
	v_fma_f64 v[16:17], v[16:17], v[2:3], -v[18:19]
	v_fma_f64 v[18:19], v[12:13], v[100:101], v[126:127]
	v_fma_f64 v[12:13], v[12:13], v[102:103], -v[14:15]
	v_fma_f64 v[14:15], v[4:5], v[104:105], v[128:129]
	v_fma_f64 v[102:103], v[4:5], v[106:107], -v[6:7]
	v_fma_f64 v[104:105], v[8:9], v[108:109], v[130:131]
	ds_read_b128 v[0:3], v231 offset:5280
	ds_read_b128 v[4:7], v231 offset:7920
	v_fma_f64 v[106:107], v[8:9], v[110:111], -v[10:11]
	s_waitcnt lgkmcnt(0)
	s_barrier
	buffer_gl0_inv
	v_add_f64 v[8:9], v[116:117], -v[124:125]
	v_add_f64 v[10:11], v[118:119], -v[16:17]
	v_add_f64 v[16:17], v[120:121], -v[18:19]
	v_add_f64 v[18:19], v[122:123], -v[12:13]
	v_add_f64 v[100:101], v[0:1], -v[14:15]
	v_add_f64 v[102:103], v[2:3], -v[102:103]
	v_add_f64 v[12:13], v[4:5], -v[104:105]
	v_add_f64 v[14:15], v[6:7], -v[106:107]
	v_fma_f64 v[104:105], v[116:117], 2.0, -v[8:9]
	v_fma_f64 v[106:107], v[118:119], 2.0, -v[10:11]
	;; [unrolled: 1-line block ×8, first 2 shown]
	ds_write_b128 v238, v[8:11] offset:176
	ds_write_b128 v238, v[104:107]
	ds_write_b128 v237, v[108:111]
	ds_write_b128 v237, v[16:19] offset:176
	ds_write_b128 v236, v[116:119]
	ds_write_b128 v236, v[100:103] offset:176
	;; [unrolled: 2-line block ×3, first 2 shown]
	s_waitcnt lgkmcnt(0)
	s_barrier
	buffer_gl0_inv
	ds_read_b128 v[8:11], v231
	ds_read_b128 v[4:7], v231 offset:2640
	ds_read_b128 v[104:107], v231 offset:7040
	;; [unrolled: 1-line block ×5, first 2 shown]
	s_and_saveexec_b32 s2, s0
	s_cbranch_execz .LBB0_23
; %bb.22:
	ds_read_b128 v[0:3], v231 offset:5280
	ds_read_b128 v[12:15], v231 offset:12320
	;; [unrolled: 1-line block ×3, first 2 shown]
.LBB0_23:
	s_or_b32 exec_lo, exec_lo, s2
	s_waitcnt lgkmcnt(3)
	v_mul_f64 v[116:117], v[50:51], v[106:107]
	s_waitcnt lgkmcnt(1)
	v_mul_f64 v[118:119], v[46:47], v[110:111]
	v_mul_f64 v[50:51], v[50:51], v[104:105]
	;; [unrolled: 1-line block ×4, first 2 shown]
	s_waitcnt lgkmcnt(0)
	v_mul_f64 v[122:123], v[38:39], v[102:103]
	v_mul_f64 v[42:43], v[42:43], v[16:17]
	;; [unrolled: 1-line block ×7, first 2 shown]
	s_mov_b32 s2, 0xe8584caa
	s_mov_b32 s3, 0xbfebb67a
	;; [unrolled: 1-line block ×4, first 2 shown]
	s_barrier
	buffer_gl0_inv
	v_fma_f64 v[104:105], v[48:49], v[104:105], v[116:117]
	v_fma_f64 v[108:109], v[44:45], v[108:109], v[118:119]
	v_fma_f64 v[48:49], v[48:49], v[106:107], -v[50:51]
	v_fma_f64 v[44:45], v[44:45], v[110:111], -v[46:47]
	v_fma_f64 v[16:17], v[40:41], v[16:17], v[120:121]
	v_fma_f64 v[46:47], v[36:37], v[100:101], v[122:123]
	v_fma_f64 v[18:19], v[40:41], v[18:19], -v[42:43]
	v_fma_f64 v[38:39], v[36:37], v[102:103], -v[38:39]
	;; [unrolled: 4-line block ×3, first 2 shown]
	v_add_f64 v[100:101], v[8:9], v[104:105]
	v_add_f64 v[36:37], v[104:105], v[108:109]
	v_add_f64 v[104:105], v[104:105], -v[108:109]
	v_add_f64 v[50:51], v[48:49], v[44:45]
	v_add_f64 v[102:103], v[48:49], -v[44:45]
	v_add_f64 v[52:53], v[16:17], v[46:47]
	v_add_f64 v[48:49], v[10:11], v[48:49]
	;; [unrolled: 1-line block ×8, first 2 shown]
	v_add_f64 v[120:121], v[16:17], -v[46:47]
	v_add_f64 v[14:15], v[14:15], -v[42:43]
	;; [unrolled: 1-line block ×3, first 2 shown]
	v_add_f64 v[110:111], v[6:7], v[18:19]
	v_add_f64 v[16:17], v[100:101], v[108:109]
	v_fma_f64 v[8:9], v[36:37], -0.5, v[8:9]
	v_fma_f64 v[10:11], v[50:51], -0.5, v[10:11]
	v_add_f64 v[50:51], v[18:19], -v[38:39]
	v_fma_f64 v[52:53], v[52:53], -0.5, v[4:5]
	v_add_f64 v[18:19], v[48:49], v[44:45]
	v_fma_f64 v[54:55], v[54:55], -0.5, v[6:7]
	v_add_f64 v[36:37], v[106:107], v[46:47]
	;; [unrolled: 2-line block ×4, first 2 shown]
	v_add_f64 v[38:39], v[110:111], v[38:39]
	v_fma_f64 v[40:41], v[102:103], s[2:3], v[8:9]
	v_fma_f64 v[44:45], v[102:103], s[8:9], v[8:9]
	;; [unrolled: 1-line block ×12, first 2 shown]
	ds_write_b128 v240, v[16:19]
	ds_write_b128 v240, v[40:43] offset:352
	ds_write_b128 v240, v[44:47] offset:704
	ds_write_b128 v239, v[36:39]
	ds_write_b128 v239, v[48:51] offset:352
	ds_write_b128 v239, v[0:3] offset:704
	s_and_saveexec_b32 s2, s0
	s_cbranch_execz .LBB0_25
; %bb.24:
	v_mad_u16 v16, 0x42, v233, v234
	v_mov_b32_e32 v17, 4
	v_lshlrev_b32_sdwa v16, v17, v16 dst_sel:DWORD dst_unused:UNUSED_PAD src0_sel:DWORD src1_sel:WORD_0
	ds_write_b128 v16, v[4:7]
	ds_write_b128 v16, v[8:11] offset:352
	ds_write_b128 v16, v[12:15] offset:704
.LBB0_25:
	s_or_b32 exec_lo, exec_lo, s2
	s_waitcnt lgkmcnt(0)
	s_barrier
	buffer_gl0_inv
	ds_read_b128 v[16:19], v231
	ds_read_b128 v[48:51], v231 offset:4224
	ds_read_b128 v[36:39], v231 offset:8448
	;; [unrolled: 1-line block ×4, first 2 shown]
	s_and_saveexec_b32 s0, s1
	s_cbranch_execz .LBB0_27
; %bb.26:
	ds_read_b128 v[0:3], v231 offset:2640
	ds_read_b128 v[4:7], v231 offset:6864
	;; [unrolled: 1-line block ×5, first 2 shown]
.LBB0_27:
	s_or_b32 exec_lo, exec_lo, s0
	s_waitcnt lgkmcnt(3)
	v_mul_f64 v[52:53], v[74:75], v[50:51]
	s_waitcnt lgkmcnt(2)
	v_mul_f64 v[54:55], v[62:63], v[38:39]
	;; [unrolled: 2-line block ×3, first 2 shown]
	v_mul_f64 v[58:59], v[74:75], v[48:49]
	s_waitcnt lgkmcnt(0)
	v_mul_f64 v[74:75], v[66:67], v[46:47]
	v_mul_f64 v[62:63], v[62:63], v[36:37]
	;; [unrolled: 1-line block ×4, first 2 shown]
	s_mov_b32 s2, 0x134454ff
	s_mov_b32 s3, 0xbfee6f0e
	;; [unrolled: 1-line block ×10, first 2 shown]
	s_barrier
	buffer_gl0_inv
	v_fma_f64 v[48:49], v[72:73], v[48:49], v[52:53]
	v_fma_f64 v[36:37], v[60:61], v[36:37], v[54:55]
	;; [unrolled: 1-line block ×3, first 2 shown]
	v_fma_f64 v[50:51], v[72:73], v[50:51], -v[58:59]
	v_fma_f64 v[44:45], v[64:65], v[44:45], v[74:75]
	v_fma_f64 v[38:39], v[60:61], v[38:39], -v[62:63]
	v_fma_f64 v[42:43], v[68:69], v[42:43], -v[70:71]
	;; [unrolled: 1-line block ×3, first 2 shown]
	v_add_f64 v[60:61], v[16:17], v[48:49]
	v_add_f64 v[52:53], v[36:37], v[40:41]
	;; [unrolled: 1-line block ×4, first 2 shown]
	v_add_f64 v[68:69], v[48:49], -v[44:45]
	v_add_f64 v[56:57], v[38:39], v[42:43]
	v_add_f64 v[58:59], v[50:51], v[46:47]
	v_add_f64 v[62:63], v[50:51], -v[46:47]
	v_add_f64 v[64:65], v[38:39], -v[42:43]
	v_add_f64 v[74:75], v[50:51], -v[38:39]
	v_add_f64 v[50:51], v[38:39], -v[50:51]
	v_add_f64 v[70:71], v[44:45], -v[40:41]
	v_add_f64 v[100:101], v[46:47], -v[42:43]
	v_add_f64 v[72:73], v[40:41], -v[44:45]
	v_add_f64 v[102:103], v[42:43], -v[46:47]
	v_fma_f64 v[52:53], v[52:53], -0.5, v[16:17]
	v_add_f64 v[38:39], v[66:67], v[38:39]
	v_fma_f64 v[16:17], v[54:55], -0.5, v[16:17]
	v_add_f64 v[54:55], v[36:37], -v[40:41]
	v_fma_f64 v[56:57], v[56:57], -0.5, v[18:19]
	v_fma_f64 v[18:19], v[58:59], -0.5, v[18:19]
	v_add_f64 v[58:59], v[48:49], -v[36:37]
	v_add_f64 v[48:49], v[36:37], -v[48:49]
	v_add_f64 v[36:37], v[60:61], v[36:37]
	v_add_f64 v[50:51], v[50:51], v[102:103]
	v_fma_f64 v[60:61], v[62:63], s[2:3], v[52:53]
	v_fma_f64 v[52:53], v[62:63], s[8:9], v[52:53]
	v_fma_f64 v[66:67], v[64:65], s[8:9], v[16:17]
	v_fma_f64 v[16:17], v[64:65], s[2:3], v[16:17]
	v_fma_f64 v[104:105], v[68:69], s[8:9], v[56:57]
	v_fma_f64 v[106:107], v[54:55], s[2:3], v[18:19]
	v_fma_f64 v[18:19], v[54:55], s[8:9], v[18:19]
	v_fma_f64 v[56:57], v[68:69], s[2:3], v[56:57]
	v_add_f64 v[36:37], v[36:37], v[40:41]
	v_add_f64 v[38:39], v[38:39], v[42:43]
	;; [unrolled: 1-line block ×5, first 2 shown]
	v_fma_f64 v[40:41], v[64:65], s[16:17], v[60:61]
	v_fma_f64 v[42:43], v[64:65], s[10:11], v[52:53]
	;; [unrolled: 1-line block ×8, first 2 shown]
	v_add_f64 v[16:17], v[36:37], v[44:45]
	v_add_f64 v[18:19], v[38:39], v[46:47]
	v_fma_f64 v[36:37], v[58:59], s[18:19], v[40:41]
	v_fma_f64 v[40:41], v[58:59], s[18:19], v[42:43]
	;; [unrolled: 1-line block ×8, first 2 shown]
	ds_write_b128 v242, v[16:19]
	ds_write_b128 v242, v[36:39] offset:1056
	ds_write_b128 v242, v[44:47] offset:2112
	;; [unrolled: 1-line block ×4, first 2 shown]
	s_and_saveexec_b32 s0, s1
	s_cbranch_execz .LBB0_29
; %bb.28:
	v_mul_f64 v[16:17], v[34:35], v[8:9]
	v_mul_f64 v[18:19], v[22:23], v[4:5]
	;; [unrolled: 1-line block ×8, first 2 shown]
	v_fma_f64 v[10:11], v[32:33], v[10:11], -v[16:17]
	v_fma_f64 v[6:7], v[20:21], v[6:7], -v[18:19]
	;; [unrolled: 1-line block ×4, first 2 shown]
	v_fma_f64 v[8:9], v[32:33], v[8:9], v[34:35]
	v_fma_f64 v[12:13], v[28:29], v[12:13], v[30:31]
	;; [unrolled: 1-line block ×4, first 2 shown]
	v_add_f64 v[32:33], v[6:7], v[2:3]
	v_add_f64 v[20:21], v[16:17], v[6:7]
	;; [unrolled: 1-line block ×3, first 2 shown]
	v_add_f64 v[36:37], v[6:7], -v[16:17]
	v_add_f64 v[24:25], v[8:9], v[12:13]
	v_add_f64 v[34:35], v[0:1], v[4:5]
	;; [unrolled: 1-line block ×3, first 2 shown]
	v_add_f64 v[28:29], v[8:9], -v[12:13]
	v_add_f64 v[30:31], v[4:5], -v[18:19]
	;; [unrolled: 1-line block ×8, first 2 shown]
	v_fma_f64 v[20:21], v[20:21], -0.5, v[2:3]
	v_fma_f64 v[2:3], v[22:23], -0.5, v[2:3]
	v_add_f64 v[22:23], v[10:11], -v[14:15]
	v_fma_f64 v[24:25], v[24:25], -0.5, v[0:1]
	v_add_f64 v[8:9], v[8:9], v[34:35]
	v_fma_f64 v[0:1], v[26:27], -0.5, v[0:1]
	v_add_f64 v[26:27], v[10:11], -v[6:7]
	v_add_f64 v[6:7], v[6:7], -v[10:11]
	v_add_f64 v[10:11], v[10:11], v[32:33]
	v_fma_f64 v[32:33], v[28:29], s[8:9], v[20:21]
	v_fma_f64 v[20:21], v[28:29], s[2:3], v[20:21]
	;; [unrolled: 1-line block ×8, first 2 shown]
	v_add_f64 v[26:27], v[38:39], v[26:27]
	v_add_f64 v[38:39], v[40:41], v[6:7]
	v_add_f64 v[40:41], v[44:45], v[42:43]
	v_add_f64 v[42:43], v[46:47], v[4:5]
	v_add_f64 v[4:5], v[14:15], v[10:11]
	v_add_f64 v[6:7], v[12:13], v[8:9]
	v_fma_f64 v[8:9], v[30:31], s[16:17], v[32:33]
	v_fma_f64 v[10:11], v[30:31], s[10:11], v[20:21]
	;; [unrolled: 1-line block ×8, first 2 shown]
	v_add_f64 v[2:3], v[16:17], v[4:5]
	v_add_f64 v[0:1], v[18:19], v[6:7]
	v_fma_f64 v[6:7], v[26:27], s[18:19], v[8:9]
	v_fma_f64 v[10:11], v[26:27], s[18:19], v[10:11]
	;; [unrolled: 1-line block ×8, first 2 shown]
	v_mov_b32_e32 v20, 4
	v_lshlrev_b32_sdwa v20, v20, v241 dst_sel:DWORD dst_unused:UNUSED_PAD src0_sel:DWORD src1_sel:WORD_0
	ds_write_b128 v20, v[0:3]
	ds_write_b128 v20, v[16:19] offset:1056
	ds_write_b128 v20, v[8:11] offset:2112
	ds_write_b128 v20, v[4:7] offset:3168
	ds_write_b128 v20, v[12:15] offset:4224
.LBB0_29:
	s_or_b32 exec_lo, exec_lo, s0
	s_waitcnt lgkmcnt(0)
	s_barrier
	buffer_gl0_inv
	ds_read_b128 v[0:3], v231 offset:5280
	ds_read_b128 v[4:7], v231 offset:10560
	;; [unrolled: 1-line block ×6, first 2 shown]
	ds_read_b128 v[24:27], v231
	ds_read_b128 v[28:31], v231 offset:2640
	s_waitcnt lgkmcnt(7)
	v_mul_f64 v[32:33], v[78:79], v[2:3]
	v_mul_f64 v[34:35], v[78:79], v[0:1]
	s_waitcnt lgkmcnt(6)
	v_mul_f64 v[36:37], v[82:83], v[6:7]
	v_mul_f64 v[38:39], v[82:83], v[4:5]
	;; [unrolled: 3-line block ×6, first 2 shown]
	v_fma_f64 v[0:1], v[76:77], v[0:1], v[32:33]
	v_fma_f64 v[2:3], v[76:77], v[2:3], -v[34:35]
	v_fma_f64 v[4:5], v[80:81], v[4:5], v[36:37]
	v_fma_f64 v[6:7], v[80:81], v[6:7], -v[38:39]
	;; [unrolled: 2-line block ×6, first 2 shown]
	s_waitcnt lgkmcnt(1)
	v_add_f64 v[32:33], v[24:25], -v[4:5]
	v_add_f64 v[34:35], v[26:27], -v[6:7]
	;; [unrolled: 1-line block ×4, first 2 shown]
	s_waitcnt lgkmcnt(0)
	v_add_f64 v[36:37], v[28:29], -v[16:17]
	v_add_f64 v[38:39], v[30:31], -v[18:19]
	;; [unrolled: 1-line block ×4, first 2 shown]
	v_fma_f64 v[24:25], v[24:25], 2.0, -v[32:33]
	v_fma_f64 v[26:27], v[26:27], 2.0, -v[34:35]
	;; [unrolled: 1-line block ×4, first 2 shown]
	v_add_f64 v[0:1], v[32:33], v[6:7]
	v_add_f64 v[2:3], v[34:35], -v[4:5]
	v_fma_f64 v[28:29], v[28:29], 2.0, -v[36:37]
	v_fma_f64 v[30:31], v[30:31], 2.0, -v[38:39]
	;; [unrolled: 1-line block ×4, first 2 shown]
	v_add_f64 v[4:5], v[36:37], v[10:11]
	v_add_f64 v[6:7], v[38:39], -v[8:9]
	v_add_f64 v[8:9], v[24:25], -v[16:17]
	;; [unrolled: 1-line block ×3, first 2 shown]
	v_fma_f64 v[16:17], v[32:33], 2.0, -v[0:1]
	v_fma_f64 v[18:19], v[34:35], 2.0, -v[2:3]
	v_add_f64 v[12:13], v[28:29], -v[12:13]
	v_add_f64 v[14:15], v[30:31], -v[14:15]
	v_fma_f64 v[20:21], v[36:37], 2.0, -v[4:5]
	v_fma_f64 v[22:23], v[38:39], 2.0, -v[6:7]
	;; [unrolled: 1-line block ×6, first 2 shown]
	ds_write_b128 v231, v[0:3] offset:15840
	ds_write_b128 v231, v[4:7] offset:18480
	;; [unrolled: 1-line block ×6, first 2 shown]
	ds_write_b128 v231, v[24:27]
	ds_write_b128 v231, v[28:31] offset:2640
	s_waitcnt lgkmcnt(0)
	s_barrier
	buffer_gl0_inv
	s_and_b32 exec_lo, exec_lo, vcc_lo
	s_cbranch_execz .LBB0_31
; %bb.30:
	v_add_co_u32 v34, s0, s14, v229
	v_add_co_ci_u32_e64 v35, null, s15, 0, s0
	s_clause 0x1
	global_load_dwordx4 v[0:3], v229, s[14:15]
	global_load_dwordx4 v[4:7], v229, s[14:15] offset:1920
	v_add_co_u32 v8, vcc_lo, 0x800, v34
	v_add_co_ci_u32_e32 v9, vcc_lo, 0, v35, vcc_lo
	v_add_co_u32 v12, vcc_lo, 0x1000, v34
	v_add_co_ci_u32_e32 v13, vcc_lo, 0, v35, vcc_lo
	;; [unrolled: 2-line block ×8, first 2 shown]
	v_add_co_u32 v40, vcc_lo, 0x4800, v34
	s_clause 0x5
	global_load_dwordx4 v[8:11], v[8:9], off offset:1792
	global_load_dwordx4 v[12:15], v[12:13], off offset:1664
	;; [unrolled: 1-line block ×6, first 2 shown]
	v_add_co_ci_u32_e32 v41, vcc_lo, 0, v35, vcc_lo
	s_clause 0x2
	global_load_dwordx4 v[32:35], v[32:33], off offset:1024
	global_load_dwordx4 v[36:39], v[36:37], off offset:896
	;; [unrolled: 1-line block ×3, first 2 shown]
	v_mad_u64_u32 v[48:49], null, s4, v230, 0
	v_mad_u64_u32 v[44:45], null, s6, v148, 0
	s_mul_i32 s0, s5, 0x780
	s_mul_hi_u32 s1, s4, 0x780
	s_mul_i32 s2, s4, 0x780
	s_add_i32 s3, s1, s0
	v_mov_b32_e32 v46, v49
	s_mov_b32 s0, 0x8d3018d3
	s_mov_b32 s1, 0x3f48d301
	v_mad_u64_u32 v[49:50], null, s7, v148, v[45:46]
	v_mad_u64_u32 v[46:47], null, s5, v230, v[46:47]
	v_mov_b32_e32 v45, v49
	v_mov_b32_e32 v49, v46
	v_lshlrev_b64 v[50:51], 4, v[44:45]
	ds_read_b128 v[44:47], v231
	v_lshlrev_b64 v[48:49], 4, v[48:49]
	v_add_co_u32 v50, vcc_lo, s12, v50
	v_add_co_ci_u32_e32 v51, vcc_lo, s13, v51, vcc_lo
	v_add_co_u32 v88, vcc_lo, v50, v48
	v_add_co_ci_u32_e32 v89, vcc_lo, v51, v49, vcc_lo
	ds_read_b128 v[48:51], v229 offset:1920
	ds_read_b128 v[52:55], v229 offset:3840
	;; [unrolled: 1-line block ×10, first 2 shown]
	v_add_co_u32 v90, vcc_lo, v88, s2
	v_add_co_ci_u32_e32 v91, vcc_lo, s3, v89, vcc_lo
	v_add_co_u32 v92, vcc_lo, v90, s2
	v_add_co_ci_u32_e32 v93, vcc_lo, s3, v91, vcc_lo
	;; [unrolled: 2-line block ×7, first 2 shown]
	s_waitcnt vmcnt(10) lgkmcnt(10)
	v_mul_f64 v[104:105], v[46:47], v[2:3]
	v_mul_f64 v[2:3], v[44:45], v[2:3]
	s_waitcnt vmcnt(9) lgkmcnt(9)
	v_mul_f64 v[106:107], v[50:51], v[6:7]
	v_mul_f64 v[6:7], v[48:49], v[6:7]
	v_fma_f64 v[44:45], v[44:45], v[0:1], v[104:105]
	v_fma_f64 v[2:3], v[0:1], v[46:47], -v[2:3]
	v_fma_f64 v[46:47], v[48:49], v[4:5], v[106:107]
	v_fma_f64 v[6:7], v[4:5], v[50:51], -v[6:7]
	s_waitcnt vmcnt(8) lgkmcnt(8)
	v_mul_f64 v[108:109], v[54:55], v[10:11]
	v_mul_f64 v[10:11], v[52:53], v[10:11]
	s_waitcnt vmcnt(7) lgkmcnt(7)
	v_mul_f64 v[110:111], v[58:59], v[14:15]
	v_mul_f64 v[14:15], v[56:57], v[14:15]
	;; [unrolled: 3-line block ×9, first 2 shown]
	v_mul_f64 v[0:1], v[44:45], s[0:1]
	v_mul_f64 v[2:3], v[2:3], s[0:1]
	;; [unrolled: 1-line block ×4, first 2 shown]
	v_fma_f64 v[48:49], v[52:53], v[8:9], v[108:109]
	v_fma_f64 v[10:11], v[8:9], v[54:55], -v[10:11]
	v_fma_f64 v[50:51], v[56:57], v[12:13], v[110:111]
	v_fma_f64 v[14:15], v[12:13], v[58:59], -v[14:15]
	v_fma_f64 v[52:53], v[60:61], v[16:17], v[112:113]
	v_fma_f64 v[18:19], v[16:17], v[62:63], -v[18:19]
	v_fma_f64 v[54:55], v[64:65], v[20:21], v[114:115]
	v_fma_f64 v[22:23], v[20:21], v[66:67], -v[22:23]
	v_fma_f64 v[56:57], v[68:69], v[24:25], v[116:117]
	v_fma_f64 v[26:27], v[24:25], v[70:71], -v[26:27]
	v_fma_f64 v[58:59], v[72:73], v[28:29], v[118:119]
	v_fma_f64 v[30:31], v[28:29], v[74:75], -v[30:31]
	v_fma_f64 v[60:61], v[76:77], v[32:33], v[120:121]
	v_fma_f64 v[34:35], v[32:33], v[78:79], -v[34:35]
	v_fma_f64 v[62:63], v[80:81], v[36:37], v[122:123]
	v_fma_f64 v[38:39], v[36:37], v[82:83], -v[38:39]
	v_fma_f64 v[64:65], v[84:85], v[40:41], v[124:125]
	v_fma_f64 v[42:43], v[40:41], v[86:87], -v[42:43]
	v_add_co_u32 v44, vcc_lo, v102, s2
	v_add_co_ci_u32_e32 v45, vcc_lo, s3, v103, vcc_lo
	v_mul_f64 v[8:9], v[48:49], s[0:1]
	v_mul_f64 v[10:11], v[10:11], s[0:1]
	v_mul_f64 v[12:13], v[50:51], s[0:1]
	v_mul_f64 v[14:15], v[14:15], s[0:1]
	v_mul_f64 v[16:17], v[52:53], s[0:1]
	v_mul_f64 v[18:19], v[18:19], s[0:1]
	v_mul_f64 v[20:21], v[54:55], s[0:1]
	v_mul_f64 v[22:23], v[22:23], s[0:1]
	v_mul_f64 v[24:25], v[56:57], s[0:1]
	v_mul_f64 v[26:27], v[26:27], s[0:1]
	v_mul_f64 v[28:29], v[58:59], s[0:1]
	v_mul_f64 v[30:31], v[30:31], s[0:1]
	v_mul_f64 v[32:33], v[60:61], s[0:1]
	v_mul_f64 v[34:35], v[34:35], s[0:1]
	v_mul_f64 v[36:37], v[62:63], s[0:1]
	v_mul_f64 v[38:39], v[38:39], s[0:1]
	v_mul_f64 v[40:41], v[64:65], s[0:1]
	v_mul_f64 v[42:43], v[42:43], s[0:1]
	v_add_co_u32 v46, vcc_lo, v44, s2
	v_add_co_ci_u32_e32 v47, vcc_lo, s3, v45, vcc_lo
	v_add_co_u32 v48, vcc_lo, v46, s2
	v_add_co_ci_u32_e32 v49, vcc_lo, s3, v47, vcc_lo
	global_store_dwordx4 v[88:89], v[0:3], off
	global_store_dwordx4 v[90:91], v[4:7], off
	;; [unrolled: 1-line block ×11, first 2 shown]
.LBB0_31:
	s_endpgm
	.section	.rodata,"a",@progbits
	.p2align	6, 0x0
	.amdhsa_kernel bluestein_single_back_len1320_dim1_dp_op_CI_CI
		.amdhsa_group_segment_fixed_size 21120
		.amdhsa_private_segment_fixed_size 0
		.amdhsa_kernarg_size 104
		.amdhsa_user_sgpr_count 6
		.amdhsa_user_sgpr_private_segment_buffer 1
		.amdhsa_user_sgpr_dispatch_ptr 0
		.amdhsa_user_sgpr_queue_ptr 0
		.amdhsa_user_sgpr_kernarg_segment_ptr 1
		.amdhsa_user_sgpr_dispatch_id 0
		.amdhsa_user_sgpr_flat_scratch_init 0
		.amdhsa_user_sgpr_private_segment_size 0
		.amdhsa_wavefront_size32 1
		.amdhsa_uses_dynamic_stack 0
		.amdhsa_system_sgpr_private_segment_wavefront_offset 0
		.amdhsa_system_sgpr_workgroup_id_x 1
		.amdhsa_system_sgpr_workgroup_id_y 0
		.amdhsa_system_sgpr_workgroup_id_z 0
		.amdhsa_system_sgpr_workgroup_info 0
		.amdhsa_system_vgpr_workitem_id 0
		.amdhsa_next_free_vgpr 249
		.amdhsa_next_free_sgpr 40
		.amdhsa_reserve_vcc 1
		.amdhsa_reserve_flat_scratch 0
		.amdhsa_float_round_mode_32 0
		.amdhsa_float_round_mode_16_64 0
		.amdhsa_float_denorm_mode_32 3
		.amdhsa_float_denorm_mode_16_64 3
		.amdhsa_dx10_clamp 1
		.amdhsa_ieee_mode 1
		.amdhsa_fp16_overflow 0
		.amdhsa_workgroup_processor_mode 1
		.amdhsa_memory_ordered 1
		.amdhsa_forward_progress 0
		.amdhsa_shared_vgpr_count 0
		.amdhsa_exception_fp_ieee_invalid_op 0
		.amdhsa_exception_fp_denorm_src 0
		.amdhsa_exception_fp_ieee_div_zero 0
		.amdhsa_exception_fp_ieee_overflow 0
		.amdhsa_exception_fp_ieee_underflow 0
		.amdhsa_exception_fp_ieee_inexact 0
		.amdhsa_exception_int_div_zero 0
	.end_amdhsa_kernel
	.text
.Lfunc_end0:
	.size	bluestein_single_back_len1320_dim1_dp_op_CI_CI, .Lfunc_end0-bluestein_single_back_len1320_dim1_dp_op_CI_CI
                                        ; -- End function
	.section	.AMDGPU.csdata,"",@progbits
; Kernel info:
; codeLenInByte = 17212
; NumSgprs: 42
; NumVgprs: 249
; ScratchSize: 0
; MemoryBound: 0
; FloatMode: 240
; IeeeMode: 1
; LDSByteSize: 21120 bytes/workgroup (compile time only)
; SGPRBlocks: 5
; VGPRBlocks: 31
; NumSGPRsForWavesPerEU: 42
; NumVGPRsForWavesPerEU: 249
; Occupancy: 4
; WaveLimiterHint : 1
; COMPUTE_PGM_RSRC2:SCRATCH_EN: 0
; COMPUTE_PGM_RSRC2:USER_SGPR: 6
; COMPUTE_PGM_RSRC2:TRAP_HANDLER: 0
; COMPUTE_PGM_RSRC2:TGID_X_EN: 1
; COMPUTE_PGM_RSRC2:TGID_Y_EN: 0
; COMPUTE_PGM_RSRC2:TGID_Z_EN: 0
; COMPUTE_PGM_RSRC2:TIDIG_COMP_CNT: 0
	.text
	.p2alignl 6, 3214868480
	.fill 48, 4, 3214868480
	.type	__hip_cuid_28a5d069fd71985d,@object ; @__hip_cuid_28a5d069fd71985d
	.section	.bss,"aw",@nobits
	.globl	__hip_cuid_28a5d069fd71985d
__hip_cuid_28a5d069fd71985d:
	.byte	0                               ; 0x0
	.size	__hip_cuid_28a5d069fd71985d, 1

	.ident	"AMD clang version 19.0.0git (https://github.com/RadeonOpenCompute/llvm-project roc-6.4.0 25133 c7fe45cf4b819c5991fe208aaa96edf142730f1d)"
	.section	".note.GNU-stack","",@progbits
	.addrsig
	.addrsig_sym __hip_cuid_28a5d069fd71985d
	.amdgpu_metadata
---
amdhsa.kernels:
  - .args:
      - .actual_access:  read_only
        .address_space:  global
        .offset:         0
        .size:           8
        .value_kind:     global_buffer
      - .actual_access:  read_only
        .address_space:  global
        .offset:         8
        .size:           8
        .value_kind:     global_buffer
      - .actual_access:  read_only
        .address_space:  global
        .offset:         16
        .size:           8
        .value_kind:     global_buffer
      - .actual_access:  read_only
        .address_space:  global
        .offset:         24
        .size:           8
        .value_kind:     global_buffer
      - .actual_access:  read_only
        .address_space:  global
        .offset:         32
        .size:           8
        .value_kind:     global_buffer
      - .offset:         40
        .size:           8
        .value_kind:     by_value
      - .address_space:  global
        .offset:         48
        .size:           8
        .value_kind:     global_buffer
      - .address_space:  global
        .offset:         56
        .size:           8
        .value_kind:     global_buffer
      - .address_space:  global
        .offset:         64
        .size:           8
        .value_kind:     global_buffer
      - .address_space:  global
        .offset:         72
        .size:           8
        .value_kind:     global_buffer
      - .offset:         80
        .size:           4
        .value_kind:     by_value
      - .address_space:  global
        .offset:         88
        .size:           8
        .value_kind:     global_buffer
      - .address_space:  global
        .offset:         96
        .size:           8
        .value_kind:     global_buffer
    .group_segment_fixed_size: 21120
    .kernarg_segment_align: 8
    .kernarg_segment_size: 104
    .language:       OpenCL C
    .language_version:
      - 2
      - 0
    .max_flat_workgroup_size: 165
    .name:           bluestein_single_back_len1320_dim1_dp_op_CI_CI
    .private_segment_fixed_size: 0
    .sgpr_count:     42
    .sgpr_spill_count: 0
    .symbol:         bluestein_single_back_len1320_dim1_dp_op_CI_CI.kd
    .uniform_work_group_size: 1
    .uses_dynamic_stack: false
    .vgpr_count:     249
    .vgpr_spill_count: 0
    .wavefront_size: 32
    .workgroup_processor_mode: 1
amdhsa.target:   amdgcn-amd-amdhsa--gfx1030
amdhsa.version:
  - 1
  - 2
...

	.end_amdgpu_metadata
